;; amdgpu-corpus repo=ROCm/hipCUB kind=compiled arch=gfx90a opt=O3
	.text
	.amdgcn_target "amdgcn-amd-amdhsa--gfx90a"
	.amdhsa_code_object_version 6
	.section	.text._Z17flag_heads_kernelIsb15custom_flag_op1IsELj234ELj9EEvPT_Px,"axG",@progbits,_Z17flag_heads_kernelIsb15custom_flag_op1IsELj234ELj9EEvPT_Px,comdat
	.protected	_Z17flag_heads_kernelIsb15custom_flag_op1IsELj234ELj9EEvPT_Px ; -- Begin function _Z17flag_heads_kernelIsb15custom_flag_op1IsELj234ELj9EEvPT_Px
	.globl	_Z17flag_heads_kernelIsb15custom_flag_op1IsELj234ELj9EEvPT_Px
	.p2align	8
	.type	_Z17flag_heads_kernelIsb15custom_flag_op1IsELj234ELj9EEvPT_Px,@function
_Z17flag_heads_kernelIsb15custom_flag_op1IsELj234ELj9EEvPT_Px: ; @_Z17flag_heads_kernelIsb15custom_flag_op1IsELj234ELj9EEvPT_Px
; %bb.0:
	s_load_dwordx4 s[0:3], s[4:5], 0x0
	s_mul_i32 s4, s6, 0x83a
	s_mov_b32 s5, 0
	s_lshl_b64 s[8:9], s[4:5], 1
	v_mul_u32_u24_e32 v1, 9, v0
	s_waitcnt lgkmcnt(0)
	s_add_u32 s8, s0, s8
	s_addc_u32 s9, s1, s9
	v_lshlrev_b32_e32 v6, 1, v1
	global_load_dwordx4 v[2:5], v6, s[8:9]
	global_load_ushort v7, v6, s[8:9] offset:16
	s_bitcmp0_b32 s6, 0
	v_lshlrev_b32_e32 v6, 1, v0
	s_waitcnt vmcnt(0)
	v_cmp_ne_u16_sdwa s[10:11], v7, v5 src0_sel:DWORD src1_sel:WORD_1
	s_cbranch_scc1 .LBB0_22
; %bb.1:
	s_add_i32 s6, s4, -1
	s_mov_b32 s7, s5
	s_lshl_b64 s[6:7], s[6:7], 1
	s_add_u32 s0, s0, s6
	s_addc_u32 s1, s1, s7
	v_mov_b32_e32 v8, 0
	global_load_ushort v8, v8, s[0:1]
	s_mov_b64 s[6:7], -1
	s_mov_b64 s[0:1], -1
	ds_write_b16 v6, v7
	s_and_saveexec_b64 s[8:9], s[10:11]
; %bb.2:
	s_movk_i32 s0, 0xcccd
	v_mov_b32_e32 v9, 0x6668
	v_mad_legacy_u16 v9, v1, s0, v9
	v_lshlrev_b16_e32 v10, 15, v9
	v_lshrrev_b16_e32 v9, 1, v9
	v_or_b32_e32 v9, v9, v10
	s_movk_i32 s0, 0x199a
	v_cmp_gt_u16_e32 vcc, s0, v9
	s_orn2_b64 s[0:1], vcc, exec
; %bb.3:
	s_or_b64 exec, exec, s[8:9]
	v_cmp_ne_u16_sdwa s[10:11], v5, v5 src0_sel:WORD_1 src1_sel:DWORD
	s_and_saveexec_b64 s[8:9], s[10:11]
; %bb.4:
	s_movk_i32 s6, 0xcccd
	v_mov_b32_e32 v9, 0xffff999b
	v_mad_legacy_u16 v9, v1, s6, v9
	v_lshlrev_b16_e32 v10, 15, v9
	v_lshrrev_b16_e32 v9, 1, v9
	v_or_b32_e32 v9, v9, v10
	s_movk_i32 s6, 0x199a
	v_cmp_gt_u16_e32 vcc, s6, v9
	s_orn2_b64 s[6:7], vcc, exec
; %bb.5:
	s_or_b64 exec, exec, s[8:9]
	v_cmp_ne_u16_sdwa s[14:15], v5, v4 src0_sel:DWORD src1_sel:WORD_1
	s_mov_b64 s[8:9], -1
	s_mov_b64 s[10:11], -1
	s_and_saveexec_b64 s[12:13], s[14:15]
; %bb.6:
	s_movk_i32 s10, 0xcccd
	v_mov_b32_e32 v9, 0xffffccce
	v_mad_legacy_u16 v9, v1, s10, v9
	v_lshlrev_b16_e32 v10, 15, v9
	v_lshrrev_b16_e32 v9, 1, v9
	v_or_b32_e32 v9, v9, v10
	s_movk_i32 s10, 0x199a
	v_cmp_gt_u16_e32 vcc, s10, v9
	s_orn2_b64 s[10:11], vcc, exec
; %bb.7:
	s_or_b64 exec, exec, s[12:13]
	v_cmp_ne_u16_sdwa s[14:15], v4, v4 src0_sel:WORD_1 src1_sel:DWORD
	s_and_saveexec_b64 s[12:13], s[14:15]
; %bb.8:
	s_movk_i32 s8, 0xcccd
	v_mad_legacy_u16 v9, v1, s8, 1
	v_lshlrev_b16_e32 v10, 15, v9
	v_lshrrev_b16_e32 v9, 1, v9
	v_or_b32_e32 v9, v9, v10
	s_movk_i32 s8, 0x199a
	v_cmp_gt_u16_e32 vcc, s8, v9
	s_orn2_b64 s[8:9], vcc, exec
; %bb.9:
	s_or_b64 exec, exec, s[12:13]
	v_cmp_ne_u16_sdwa s[18:19], v4, v3 src0_sel:DWORD src1_sel:WORD_1
	s_mov_b64 s[14:15], -1
	s_mov_b64 s[12:13], -1
	s_and_saveexec_b64 s[16:17], s[18:19]
; %bb.10:
	s_movk_i32 s12, 0xcccd
	v_mov_b32_e32 v9, 0x3334
	v_mad_legacy_u16 v9, v1, s12, v9
	v_lshlrev_b16_e32 v10, 15, v9
	v_lshrrev_b16_e32 v9, 1, v9
	v_or_b32_e32 v9, v9, v10
	s_movk_i32 s12, 0x199a
	v_cmp_gt_u16_e32 vcc, s12, v9
	s_orn2_b64 s[12:13], vcc, exec
; %bb.11:
	s_or_b64 exec, exec, s[16:17]
	v_cmp_ne_u16_sdwa s[18:19], v3, v3 src0_sel:WORD_1 src1_sel:DWORD
	s_and_saveexec_b64 s[16:17], s[18:19]
; %bb.12:
	s_movk_i32 s14, 0xcccd
	v_mov_b32_e32 v9, 0x6667
	v_mad_legacy_u16 v9, v1, s14, v9
	v_lshlrev_b16_e32 v10, 15, v9
	v_lshrrev_b16_e32 v9, 1, v9
	v_or_b32_e32 v9, v9, v10
	s_movk_i32 s14, 0x199a
	v_cmp_gt_u16_e32 vcc, s14, v9
	s_orn2_b64 s[14:15], vcc, exec
; %bb.13:
	s_or_b64 exec, exec, s[16:17]
	v_cmp_ne_u16_sdwa s[22:23], v3, v2 src0_sel:DWORD src1_sel:WORD_1
	s_mov_b64 s[16:17], -1
	s_mov_b64 s[18:19], -1
	s_and_saveexec_b64 s[20:21], s[22:23]
; %bb.14:
	s_movk_i32 s18, 0xcccd
	v_mov_b32_e32 v9, 0xffff999a
	v_mad_legacy_u16 v9, v1, s18, v9
	v_lshlrev_b16_e32 v10, 15, v9
	v_lshrrev_b16_e32 v9, 1, v9
	v_or_b32_e32 v9, v9, v10
	s_movk_i32 s18, 0x199a
	v_cmp_gt_u16_e32 vcc, s18, v9
	s_orn2_b64 s[18:19], vcc, exec
; %bb.15:
	s_or_b64 exec, exec, s[20:21]
	v_cmp_ne_u16_sdwa s[22:23], v2, v2 src0_sel:WORD_1 src1_sel:DWORD
	s_and_saveexec_b64 s[20:21], s[22:23]
; %bb.16:
	s_movk_i32 s16, 0xcccd
	v_mad_legacy_u16 v9, v1, s16, s16
	v_lshlrev_b16_e32 v10, 15, v9
	v_lshrrev_b16_e32 v9, 1, v9
	v_or_b32_e32 v9, v9, v10
	s_movk_i32 s16, 0x199a
	v_cmp_gt_u16_e32 vcc, s16, v9
	s_orn2_b64 s[16:17], vcc, exec
; %bb.17:
	s_or_b64 exec, exec, s[20:21]
	v_cmp_ne_u32_e32 vcc, 0, v0
	s_waitcnt lgkmcnt(0)
	s_barrier
	s_and_saveexec_b64 s[20:21], vcc
	s_cbranch_execz .LBB0_19
; %bb.18:
	s_waitcnt vmcnt(0)
	v_add_u32_e32 v8, -2, v6
	ds_read_u16 v8, v8
.LBB0_19:
	s_or_b64 exec, exec, s[20:21]
	s_waitcnt vmcnt(0) lgkmcnt(0)
	v_cmp_ne_u16_e32 vcc, v2, v8
	s_mov_b64 s[20:21], -1
	s_and_saveexec_b64 s[22:23], vcc
; %bb.20:
	v_mul_lo_u16_e32 v8, 0xcccd, v1
	v_lshlrev_b16_e32 v9, 15, v8
	v_lshrrev_b16_e32 v8, 1, v8
	v_or_b32_e32 v8, v8, v9
	s_movk_i32 s20, 0x199a
	v_cmp_gt_u16_e32 vcc, s20, v8
	s_orn2_b64 s[20:21], vcc, exec
; %bb.21:
	s_or_b64 exec, exec, s[22:23]
	v_cndmask_b32_e64 v8, 0, 1, s[16:17]
	v_cndmask_b32_e64 v11, 0, 1, s[14:15]
	;; [unrolled: 1-line block ×4, first 2 shown]
	v_lshlrev_b16_e32 v8, 8, v8
	v_lshlrev_b16_e32 v11, 8, v11
	v_cndmask_b32_e64 v13, 0, 1, s[8:9]
	v_cndmask_b32_e64 v15, 0, 1, s[6:7]
	v_or_b32_e32 v8, v16, v8
	v_or_b32_sdwa v9, v9, v11 dst_sel:WORD_1 dst_unused:UNUSED_PAD src0_sel:DWORD src1_sel:DWORD
	v_cndmask_b32_e64 v12, 0, 1, s[12:13]
	v_cndmask_b32_e64 v14, 0, 1, s[10:11]
	v_or_b32_sdwa v9, v8, v9 dst_sel:DWORD dst_unused:UNUSED_PAD src0_sel:WORD_0 src1_sel:DWORD
	v_lshlrev_b16_e32 v8, 8, v13
	v_lshlrev_b16_e32 v11, 8, v15
	v_or_b32_e32 v8, v12, v8
	v_or_b32_sdwa v11, v14, v11 dst_sel:WORD_1 dst_unused:UNUSED_PAD src0_sel:DWORD src1_sel:DWORD
	v_cndmask_b32_e64 v10, 0, 1, s[0:1]
	v_or_b32_sdwa v8, v8, v11 dst_sel:DWORD dst_unused:UNUSED_PAD src0_sel:WORD_0 src1_sel:DWORD
	s_branch .LBB0_44
.LBB0_22:
                                        ; implicit-def: $vgpr10
                                        ; implicit-def: $vgpr8
                                        ; implicit-def: $vgpr9
	s_cbranch_execz .LBB0_44
; %bb.23:
	v_cmp_ne_u16_sdwa s[10:11], v7, v5 src0_sel:DWORD src1_sel:WORD_1
	s_mov_b64 s[6:7], -1
	s_mov_b64 s[0:1], -1
	ds_write_b16 v6, v7
	s_and_saveexec_b64 s[8:9], s[10:11]
; %bb.24:
	s_movk_i32 s0, 0xcccd
	v_mov_b32_e32 v7, 0x6668
	v_mad_legacy_u16 v7, v1, s0, v7
	v_lshlrev_b16_e32 v8, 15, v7
	v_lshrrev_b16_e32 v7, 1, v7
	v_or_b32_e32 v7, v7, v8
	s_movk_i32 s0, 0x199a
	v_cmp_gt_u16_e32 vcc, s0, v7
	s_orn2_b64 s[0:1], vcc, exec
; %bb.25:
	s_or_b64 exec, exec, s[8:9]
	v_cmp_ne_u16_sdwa s[10:11], v5, v5 src0_sel:WORD_1 src1_sel:DWORD
	s_and_saveexec_b64 s[8:9], s[10:11]
; %bb.26:
	s_movk_i32 s6, 0xcccd
	v_mov_b32_e32 v7, 0xffff999b
	v_mad_legacy_u16 v7, v1, s6, v7
	v_lshlrev_b16_e32 v8, 15, v7
	v_lshrrev_b16_e32 v7, 1, v7
	v_or_b32_e32 v7, v7, v8
	s_movk_i32 s6, 0x199a
	v_cmp_gt_u16_e32 vcc, s6, v7
	s_orn2_b64 s[6:7], vcc, exec
; %bb.27:
	s_or_b64 exec, exec, s[8:9]
	v_cmp_ne_u16_sdwa s[14:15], v5, v4 src0_sel:DWORD src1_sel:WORD_1
	s_mov_b64 s[8:9], -1
	s_mov_b64 s[10:11], -1
	s_and_saveexec_b64 s[12:13], s[14:15]
; %bb.28:
	s_movk_i32 s10, 0xcccd
	v_mov_b32_e32 v5, 0xffffccce
	v_mad_legacy_u16 v5, v1, s10, v5
	v_lshlrev_b16_e32 v7, 15, v5
	v_lshrrev_b16_e32 v5, 1, v5
	v_or_b32_e32 v5, v5, v7
	s_movk_i32 s10, 0x199a
	v_cmp_gt_u16_e32 vcc, s10, v5
	s_orn2_b64 s[10:11], vcc, exec
; %bb.29:
	s_or_b64 exec, exec, s[12:13]
	v_cmp_ne_u16_sdwa s[14:15], v4, v4 src0_sel:WORD_1 src1_sel:DWORD
	s_and_saveexec_b64 s[12:13], s[14:15]
; %bb.30:
	s_movk_i32 s8, 0xcccd
	v_mad_legacy_u16 v5, v1, s8, 1
	v_lshlrev_b16_e32 v7, 15, v5
	v_lshrrev_b16_e32 v5, 1, v5
	v_or_b32_e32 v5, v5, v7
	s_movk_i32 s8, 0x199a
	v_cmp_gt_u16_e32 vcc, s8, v5
	s_orn2_b64 s[8:9], vcc, exec
; %bb.31:
	s_or_b64 exec, exec, s[12:13]
	v_cmp_ne_u16_sdwa s[18:19], v4, v3 src0_sel:DWORD src1_sel:WORD_1
	s_mov_b64 s[14:15], -1
	s_mov_b64 s[12:13], -1
	s_and_saveexec_b64 s[16:17], s[18:19]
; %bb.32:
	s_movk_i32 s12, 0xcccd
	v_mov_b32_e32 v4, 0x3334
	v_mad_legacy_u16 v4, v1, s12, v4
	v_lshlrev_b16_e32 v5, 15, v4
	v_lshrrev_b16_e32 v4, 1, v4
	v_or_b32_e32 v4, v4, v5
	s_movk_i32 s12, 0x199a
	v_cmp_gt_u16_e32 vcc, s12, v4
	s_orn2_b64 s[12:13], vcc, exec
; %bb.33:
	s_or_b64 exec, exec, s[16:17]
	v_cmp_ne_u16_sdwa s[18:19], v3, v3 src0_sel:WORD_1 src1_sel:DWORD
	s_and_saveexec_b64 s[16:17], s[18:19]
; %bb.34:
	s_movk_i32 s14, 0xcccd
	v_mov_b32_e32 v4, 0x6667
	v_mad_legacy_u16 v4, v1, s14, v4
	v_lshlrev_b16_e32 v5, 15, v4
	v_lshrrev_b16_e32 v4, 1, v4
	v_or_b32_e32 v4, v4, v5
	s_movk_i32 s14, 0x199a
	v_cmp_gt_u16_e32 vcc, s14, v4
	s_orn2_b64 s[14:15], vcc, exec
; %bb.35:
	s_or_b64 exec, exec, s[16:17]
	v_cmp_ne_u16_sdwa s[22:23], v3, v2 src0_sel:DWORD src1_sel:WORD_1
	s_mov_b64 s[16:17], -1
	s_mov_b64 s[18:19], -1
	s_and_saveexec_b64 s[20:21], s[22:23]
; %bb.36:
	s_movk_i32 s18, 0xcccd
	v_mov_b32_e32 v3, 0xffff999a
	v_mad_legacy_u16 v3, v1, s18, v3
	v_lshlrev_b16_e32 v4, 15, v3
	v_lshrrev_b16_e32 v3, 1, v3
	v_or_b32_e32 v3, v3, v4
	s_movk_i32 s18, 0x199a
	v_cmp_gt_u16_e32 vcc, s18, v3
	s_orn2_b64 s[18:19], vcc, exec
; %bb.37:
	s_or_b64 exec, exec, s[20:21]
	v_cmp_ne_u16_sdwa s[22:23], v2, v2 src0_sel:WORD_1 src1_sel:DWORD
	s_and_saveexec_b64 s[20:21], s[22:23]
; %bb.38:
	s_movk_i32 s16, 0xcccd
	v_mad_legacy_u16 v3, v1, s16, s16
	v_lshlrev_b16_e32 v4, 15, v3
	v_lshrrev_b16_e32 v3, 1, v3
	v_or_b32_e32 v3, v3, v4
	s_movk_i32 s16, 0x199a
	v_cmp_gt_u16_e32 vcc, s16, v3
	s_orn2_b64 s[16:17], vcc, exec
; %bb.39:
	s_or_b64 exec, exec, s[20:21]
	v_cndmask_b32_e64 v4, 0, 1, s[14:15]
	v_cndmask_b32_e64 v9, 0, 1, s[16:17]
	v_cndmask_b32_e64 v3, 0, 1, s[18:19]
	v_lshlrev_b16_e32 v9, 8, v9
	v_lshlrev_b16_e32 v4, 8, v4
	v_cndmask_b32_e64 v7, 0, 1, s[8:9]
	v_cndmask_b32_e64 v10, 0, 1, s[6:7]
	v_or_b32_e32 v9, 1, v9
	v_or_b32_sdwa v3, v3, v4 dst_sel:WORD_1 dst_unused:UNUSED_PAD src0_sel:DWORD src1_sel:DWORD
	v_cndmask_b32_e64 v5, 0, 1, s[12:13]
	v_cndmask_b32_e64 v8, 0, 1, s[10:11]
	v_or_b32_sdwa v9, v9, v3 dst_sel:DWORD dst_unused:UNUSED_PAD src0_sel:WORD_0 src1_sel:DWORD
	v_lshlrev_b16_e32 v3, 8, v7
	v_lshlrev_b16_e32 v4, 8, v10
	v_or_b32_e32 v3, v5, v3
	v_or_b32_sdwa v4, v8, v4 dst_sel:WORD_1 dst_unused:UNUSED_PAD src0_sel:DWORD src1_sel:DWORD
	v_or_b32_sdwa v8, v3, v4 dst_sel:DWORD dst_unused:UNUSED_PAD src0_sel:WORD_0 src1_sel:DWORD
	v_cmp_ne_u32_e32 vcc, 0, v0
	s_waitcnt lgkmcnt(0)
	s_barrier
	s_and_saveexec_b64 s[6:7], vcc
	s_cbranch_execz .LBB0_43
; %bb.40:
	v_add_u32_e32 v0, -2, v6
	ds_read_u16 v0, v0
	s_mov_b64 s[10:11], -1
	s_waitcnt lgkmcnt(0)
	v_cmp_ne_u16_e32 vcc, v2, v0
	s_and_saveexec_b64 s[8:9], vcc
; %bb.41:
	v_mul_lo_u16_e32 v0, 0xcccd, v1
	v_lshlrev_b16_e32 v2, 15, v0
	v_lshrrev_b16_e32 v0, 1, v0
	v_or_b32_e32 v0, v0, v2
	s_movk_i32 s10, 0x199a
	v_cmp_gt_u16_e32 vcc, s10, v0
	s_orn2_b64 s[10:11], vcc, exec
; %bb.42:
	s_or_b64 exec, exec, s[8:9]
	v_lshrrev_b32_e32 v2, 24, v9
	s_movk_i32 s8, 0xff
	v_lshlrev_b16_e32 v2, 8, v2
	v_and_b32_sdwa v3, v9, s8 dst_sel:DWORD dst_unused:UNUSED_PAD src0_sel:WORD_1 src1_sel:DWORD
	v_or_b32_sdwa v2, v3, v2 dst_sel:WORD_1 dst_unused:UNUSED_PAD src0_sel:DWORD src1_sel:DWORD
	v_mov_b32_e32 v3, 8
	v_cndmask_b32_e64 v0, 0, 1, s[10:11]
	v_lshrrev_b32_sdwa v3, v3, v9 dst_sel:BYTE_1 dst_unused:UNUSED_PAD src0_sel:DWORD src1_sel:DWORD
	v_or_b32_e32 v0, v0, v3
	v_or_b32_sdwa v9, v0, v2 dst_sel:DWORD dst_unused:UNUSED_PAD src0_sel:WORD_0 src1_sel:DWORD
.LBB0_43:
	s_or_b64 exec, exec, s[6:7]
	v_cndmask_b32_e64 v10, 0, 1, s[0:1]
.LBB0_44:
	s_lshl_b64 s[0:1], s[4:5], 3
	s_add_u32 s0, s2, s0
	v_lshlrev_b32_e32 v4, 3, v1
	v_mov_b32_e32 v1, 0
	s_addc_u32 s1, s3, s1
	v_and_b32_e32 v0, 0xff, v9
	v_bfe_u32 v2, v9, 8, 8
	v_mov_b32_e32 v3, v1
	global_store_dwordx4 v4, v[0:3], s[0:1]
	s_nop 0
	v_lshrrev_b32_e32 v2, 24, v9
	v_bfe_u32 v0, v9, 16, 8
	global_store_dwordx4 v4, v[0:3], s[0:1] offset:16
	s_nop 0
	v_and_b32_e32 v0, 0xff, v8
	v_bfe_u32 v2, v8, 8, 8
	global_store_dwordx4 v4, v[0:3], s[0:1] offset:32
	s_nop 0
	v_lshrrev_b32_e32 v2, 24, v8
	v_bfe_u32 v0, v8, 16, 8
	global_store_dwordx4 v4, v[0:3], s[0:1] offset:48
	s_nop 0
	v_and_b32_e32 v0, 0xff, v10
	global_store_dwordx2 v4, v[0:1], s[0:1] offset:64
	s_endpgm
	.section	.rodata,"a",@progbits
	.p2align	6, 0x0
	.amdhsa_kernel _Z17flag_heads_kernelIsb15custom_flag_op1IsELj234ELj9EEvPT_Px
		.amdhsa_group_segment_fixed_size 936
		.amdhsa_private_segment_fixed_size 0
		.amdhsa_kernarg_size 16
		.amdhsa_user_sgpr_count 6
		.amdhsa_user_sgpr_private_segment_buffer 1
		.amdhsa_user_sgpr_dispatch_ptr 0
		.amdhsa_user_sgpr_queue_ptr 0
		.amdhsa_user_sgpr_kernarg_segment_ptr 1
		.amdhsa_user_sgpr_dispatch_id 0
		.amdhsa_user_sgpr_flat_scratch_init 0
		.amdhsa_user_sgpr_kernarg_preload_length 0
		.amdhsa_user_sgpr_kernarg_preload_offset 0
		.amdhsa_user_sgpr_private_segment_size 0
		.amdhsa_uses_dynamic_stack 0
		.amdhsa_system_sgpr_private_segment_wavefront_offset 0
		.amdhsa_system_sgpr_workgroup_id_x 1
		.amdhsa_system_sgpr_workgroup_id_y 0
		.amdhsa_system_sgpr_workgroup_id_z 0
		.amdhsa_system_sgpr_workgroup_info 0
		.amdhsa_system_vgpr_workitem_id 0
		.amdhsa_next_free_vgpr 17
		.amdhsa_next_free_sgpr 24
		.amdhsa_accum_offset 20
		.amdhsa_reserve_vcc 1
		.amdhsa_reserve_flat_scratch 0
		.amdhsa_float_round_mode_32 0
		.amdhsa_float_round_mode_16_64 0
		.amdhsa_float_denorm_mode_32 3
		.amdhsa_float_denorm_mode_16_64 3
		.amdhsa_dx10_clamp 1
		.amdhsa_ieee_mode 1
		.amdhsa_fp16_overflow 0
		.amdhsa_tg_split 0
		.amdhsa_exception_fp_ieee_invalid_op 0
		.amdhsa_exception_fp_denorm_src 0
		.amdhsa_exception_fp_ieee_div_zero 0
		.amdhsa_exception_fp_ieee_overflow 0
		.amdhsa_exception_fp_ieee_underflow 0
		.amdhsa_exception_fp_ieee_inexact 0
		.amdhsa_exception_int_div_zero 0
	.end_amdhsa_kernel
	.section	.text._Z17flag_heads_kernelIsb15custom_flag_op1IsELj234ELj9EEvPT_Px,"axG",@progbits,_Z17flag_heads_kernelIsb15custom_flag_op1IsELj234ELj9EEvPT_Px,comdat
.Lfunc_end0:
	.size	_Z17flag_heads_kernelIsb15custom_flag_op1IsELj234ELj9EEvPT_Px, .Lfunc_end0-_Z17flag_heads_kernelIsb15custom_flag_op1IsELj234ELj9EEvPT_Px
                                        ; -- End function
	.section	.AMDGPU.csdata,"",@progbits
; Kernel info:
; codeLenInByte = 1760
; NumSgprs: 28
; NumVgprs: 17
; NumAgprs: 0
; TotalNumVgprs: 17
; ScratchSize: 0
; MemoryBound: 0
; FloatMode: 240
; IeeeMode: 1
; LDSByteSize: 936 bytes/workgroup (compile time only)
; SGPRBlocks: 3
; VGPRBlocks: 2
; NumSGPRsForWavesPerEU: 28
; NumVGPRsForWavesPerEU: 17
; AccumOffset: 20
; Occupancy: 8
; WaveLimiterHint : 0
; COMPUTE_PGM_RSRC2:SCRATCH_EN: 0
; COMPUTE_PGM_RSRC2:USER_SGPR: 6
; COMPUTE_PGM_RSRC2:TRAP_HANDLER: 0
; COMPUTE_PGM_RSRC2:TGID_X_EN: 1
; COMPUTE_PGM_RSRC2:TGID_Y_EN: 0
; COMPUTE_PGM_RSRC2:TGID_Z_EN: 0
; COMPUTE_PGM_RSRC2:TIDIG_COMP_CNT: 0
; COMPUTE_PGM_RSRC3_GFX90A:ACCUM_OFFSET: 4
; COMPUTE_PGM_RSRC3_GFX90A:TG_SPLIT: 0
	.section	.text._Z17flag_heads_kernelItiN10test_utils7greaterELj100ELj3EEvPT_Px,"axG",@progbits,_Z17flag_heads_kernelItiN10test_utils7greaterELj100ELj3EEvPT_Px,comdat
	.protected	_Z17flag_heads_kernelItiN10test_utils7greaterELj100ELj3EEvPT_Px ; -- Begin function _Z17flag_heads_kernelItiN10test_utils7greaterELj100ELj3EEvPT_Px
	.globl	_Z17flag_heads_kernelItiN10test_utils7greaterELj100ELj3EEvPT_Px
	.p2align	8
	.type	_Z17flag_heads_kernelItiN10test_utils7greaterELj100ELj3EEvPT_Px,@function
_Z17flag_heads_kernelItiN10test_utils7greaterELj100ELj3EEvPT_Px: ; @_Z17flag_heads_kernelItiN10test_utils7greaterELj100ELj3EEvPT_Px
; %bb.0:
	s_load_dwordx4 s[0:3], s[4:5], 0x0
	s_mul_i32 s4, s6, 0x12c
	s_mov_b32 s5, 0
	s_lshl_b64 s[8:9], s[4:5], 1
	v_mul_u32_u24_e32 v1, 3, v0
	s_waitcnt lgkmcnt(0)
	s_add_u32 s8, s0, s8
	s_addc_u32 s9, s1, s9
	v_lshlrev_b32_e32 v2, 1, v1
	global_load_ushort v7, v2, s[8:9] offset:4
	global_load_dword v3, v2, s[8:9]
	s_bitcmp0_b32 s6, 0
	v_lshlrev_b32_e32 v5, 1, v0
	v_cmp_ne_u32_e32 vcc, 0, v0
	s_cbranch_scc1 .LBB1_4
; %bb.1:
	s_add_i32 s6, s4, -1
	s_mov_b32 s7, s5
	s_lshl_b64 s[6:7], s[6:7], 1
	s_add_u32 s0, s0, s6
	s_addc_u32 s1, s1, s7
	v_mov_b32_e32 v2, 0
	global_load_ushort v2, v2, s[0:1]
	s_waitcnt vmcnt(2)
	ds_write_b16 v5, v7
	s_waitcnt lgkmcnt(0)
	s_barrier
	s_and_saveexec_b64 s[0:1], vcc
	s_cbranch_execz .LBB1_3
; %bb.2:
	s_waitcnt vmcnt(0)
	v_add_u32_e32 v2, -2, v5
	ds_read_u16 v2, v2
.LBB1_3:
	s_or_b64 exec, exec, s[0:1]
	s_waitcnt vmcnt(1)
	v_cmp_gt_u16_sdwa s[0:1], v7, v3 src0_sel:DWORD src1_sel:WORD_1
	v_cndmask_b32_e64 v6, 0, 1, s[0:1]
	v_cmp_gt_u16_sdwa s[0:1], v3, v3 src0_sel:WORD_1 src1_sel:DWORD
	s_waitcnt vmcnt(0) lgkmcnt(0)
	v_cmp_gt_u16_e32 vcc, v3, v2
	v_cndmask_b32_e64 v4, 0, 1, s[0:1]
	v_cndmask_b32_e64 v2, 0, 1, vcc
	s_branch .LBB1_8
.LBB1_4:
                                        ; implicit-def: $vgpr6
                                        ; implicit-def: $vgpr4
	s_cbranch_execz .LBB1_8
; %bb.5:
	s_waitcnt vmcnt(0)
	v_cmp_gt_u16_sdwa s[0:1], v7, v3 src0_sel:DWORD src1_sel:WORD_1
	v_cmp_gt_u16_sdwa s[6:7], v3, v3 src0_sel:WORD_1 src1_sel:DWORD
	v_cmp_ne_u32_e32 vcc, 0, v0
	v_mov_b32_e32 v2, 1
	ds_write_b16 v5, v7
	s_waitcnt lgkmcnt(0)
	s_barrier
	s_and_saveexec_b64 s[8:9], vcc
	s_cbranch_execz .LBB1_7
; %bb.6:
	v_add_u32_e32 v0, -2, v5
	ds_read_u16 v0, v0
	s_waitcnt lgkmcnt(0)
	v_cmp_gt_u16_e32 vcc, v3, v0
	v_cndmask_b32_e64 v2, 0, 1, vcc
.LBB1_7:
	s_or_b64 exec, exec, s[8:9]
	v_cndmask_b32_e64 v6, 0, 1, s[0:1]
	v_cndmask_b32_e64 v4, 0, 1, s[6:7]
.LBB1_8:
	s_lshl_b64 s[0:1], s[4:5], 3
	s_add_u32 s0, s2, s0
	s_addc_u32 s1, s3, s1
	v_lshlrev_b32_e32 v0, 3, v1
	s_waitcnt vmcnt(0)
	v_ashrrev_i32_e32 v3, 31, v2
	v_ashrrev_i32_e32 v5, 31, v4
	;; [unrolled: 1-line block ×3, first 2 shown]
	global_store_dwordx4 v0, v[2:5], s[0:1]
	global_store_dwordx2 v0, v[6:7], s[0:1] offset:16
	s_endpgm
	.section	.rodata,"a",@progbits
	.p2align	6, 0x0
	.amdhsa_kernel _Z17flag_heads_kernelItiN10test_utils7greaterELj100ELj3EEvPT_Px
		.amdhsa_group_segment_fixed_size 400
		.amdhsa_private_segment_fixed_size 0
		.amdhsa_kernarg_size 16
		.amdhsa_user_sgpr_count 6
		.amdhsa_user_sgpr_private_segment_buffer 1
		.amdhsa_user_sgpr_dispatch_ptr 0
		.amdhsa_user_sgpr_queue_ptr 0
		.amdhsa_user_sgpr_kernarg_segment_ptr 1
		.amdhsa_user_sgpr_dispatch_id 0
		.amdhsa_user_sgpr_flat_scratch_init 0
		.amdhsa_user_sgpr_kernarg_preload_length 0
		.amdhsa_user_sgpr_kernarg_preload_offset 0
		.amdhsa_user_sgpr_private_segment_size 0
		.amdhsa_uses_dynamic_stack 0
		.amdhsa_system_sgpr_private_segment_wavefront_offset 0
		.amdhsa_system_sgpr_workgroup_id_x 1
		.amdhsa_system_sgpr_workgroup_id_y 0
		.amdhsa_system_sgpr_workgroup_id_z 0
		.amdhsa_system_sgpr_workgroup_info 0
		.amdhsa_system_vgpr_workitem_id 0
		.amdhsa_next_free_vgpr 8
		.amdhsa_next_free_sgpr 10
		.amdhsa_accum_offset 8
		.amdhsa_reserve_vcc 1
		.amdhsa_reserve_flat_scratch 0
		.amdhsa_float_round_mode_32 0
		.amdhsa_float_round_mode_16_64 0
		.amdhsa_float_denorm_mode_32 3
		.amdhsa_float_denorm_mode_16_64 3
		.amdhsa_dx10_clamp 1
		.amdhsa_ieee_mode 1
		.amdhsa_fp16_overflow 0
		.amdhsa_tg_split 0
		.amdhsa_exception_fp_ieee_invalid_op 0
		.amdhsa_exception_fp_denorm_src 0
		.amdhsa_exception_fp_ieee_div_zero 0
		.amdhsa_exception_fp_ieee_overflow 0
		.amdhsa_exception_fp_ieee_underflow 0
		.amdhsa_exception_fp_ieee_inexact 0
		.amdhsa_exception_int_div_zero 0
	.end_amdhsa_kernel
	.section	.text._Z17flag_heads_kernelItiN10test_utils7greaterELj100ELj3EEvPT_Px,"axG",@progbits,_Z17flag_heads_kernelItiN10test_utils7greaterELj100ELj3EEvPT_Px,comdat
.Lfunc_end1:
	.size	_Z17flag_heads_kernelItiN10test_utils7greaterELj100ELj3EEvPT_Px, .Lfunc_end1-_Z17flag_heads_kernelItiN10test_utils7greaterELj100ELj3EEvPT_Px
                                        ; -- End function
	.section	.AMDGPU.csdata,"",@progbits
; Kernel info:
; codeLenInByte = 368
; NumSgprs: 14
; NumVgprs: 8
; NumAgprs: 0
; TotalNumVgprs: 8
; ScratchSize: 0
; MemoryBound: 0
; FloatMode: 240
; IeeeMode: 1
; LDSByteSize: 400 bytes/workgroup (compile time only)
; SGPRBlocks: 1
; VGPRBlocks: 0
; NumSGPRsForWavesPerEU: 14
; NumVGPRsForWavesPerEU: 8
; AccumOffset: 8
; Occupancy: 8
; WaveLimiterHint : 0
; COMPUTE_PGM_RSRC2:SCRATCH_EN: 0
; COMPUTE_PGM_RSRC2:USER_SGPR: 6
; COMPUTE_PGM_RSRC2:TRAP_HANDLER: 0
; COMPUTE_PGM_RSRC2:TGID_X_EN: 1
; COMPUTE_PGM_RSRC2:TGID_Y_EN: 0
; COMPUTE_PGM_RSRC2:TGID_Z_EN: 0
; COMPUTE_PGM_RSRC2:TIDIG_COMP_CNT: 0
; COMPUTE_PGM_RSRC3_GFX90A:ACCUM_OFFSET: 1
; COMPUTE_PGM_RSRC3_GFX90A:TG_SPLIT: 0
	.section	.text._Z17flag_heads_kernelI12hip_bfloat16iN10test_utils7greaterELj37ELj3EEvPT_Px,"axG",@progbits,_Z17flag_heads_kernelI12hip_bfloat16iN10test_utils7greaterELj37ELj3EEvPT_Px,comdat
	.protected	_Z17flag_heads_kernelI12hip_bfloat16iN10test_utils7greaterELj37ELj3EEvPT_Px ; -- Begin function _Z17flag_heads_kernelI12hip_bfloat16iN10test_utils7greaterELj37ELj3EEvPT_Px
	.globl	_Z17flag_heads_kernelI12hip_bfloat16iN10test_utils7greaterELj37ELj3EEvPT_Px
	.p2align	8
	.type	_Z17flag_heads_kernelI12hip_bfloat16iN10test_utils7greaterELj37ELj3EEvPT_Px,@function
_Z17flag_heads_kernelI12hip_bfloat16iN10test_utils7greaterELj37ELj3EEvPT_Px: ; @_Z17flag_heads_kernelI12hip_bfloat16iN10test_utils7greaterELj37ELj3EEvPT_Px
; %bb.0:
	s_load_dwordx4 s[0:3], s[4:5], 0x0
	s_mul_i32 s4, s6, 0x6f
	s_mov_b32 s5, 0
	s_lshl_b64 s[8:9], s[4:5], 1
	v_mul_u32_u24_e32 v1, 3, v0
	s_waitcnt lgkmcnt(0)
	s_add_u32 s8, s0, s8
	s_addc_u32 s9, s1, s9
	v_lshlrev_b32_e32 v2, 1, v1
	global_load_dword v5, v2, s[8:9]
	global_load_ushort v7, v2, s[8:9] offset:4
	s_bitcmp0_b32 s6, 0
	v_lshlrev_b32_e32 v3, 1, v0
	v_cmp_ne_u32_e32 vcc, 0, v0
	s_cbranch_scc1 .LBB2_4
; %bb.1:
	s_add_i32 s6, s4, -1
	s_mov_b32 s7, s5
	s_lshl_b64 s[6:7], s[6:7], 1
	s_add_u32 s0, s0, s6
	s_addc_u32 s1, s1, s7
	v_mov_b32_e32 v2, 0
	global_load_ushort v2, v2, s[0:1]
	s_waitcnt vmcnt(1)
	ds_write_b16 v3, v7
	s_waitcnt lgkmcnt(0)
	; wave barrier
	s_waitcnt lgkmcnt(0)
	s_and_saveexec_b64 s[0:1], vcc
	s_cbranch_execz .LBB2_3
; %bb.2:
	s_waitcnt vmcnt(0)
	v_add_u32_e32 v2, -2, v3
	ds_read_u16 v2, v2
.LBB2_3:
	s_or_b64 exec, exec, s[0:1]
	v_lshlrev_b32_e32 v4, 16, v5
	s_waitcnt vmcnt(0) lgkmcnt(0)
	v_lshlrev_b32_e32 v2, 16, v2
	v_and_b32_e32 v8, 0xffff0000, v5
	v_cmp_gt_f32_e32 vcc, v4, v2
	v_lshlrev_b32_e32 v6, 16, v7
	v_cndmask_b32_e64 v2, 0, 1, vcc
	v_cmp_gt_f32_e32 vcc, v8, v4
	v_cndmask_b32_e64 v4, 0, 1, vcc
	v_cmp_gt_f32_e32 vcc, v6, v8
	v_cndmask_b32_e64 v6, 0, 1, vcc
	s_branch .LBB2_8
.LBB2_4:
                                        ; implicit-def: $vgpr6
                                        ; implicit-def: $vgpr4
	s_cbranch_execz .LBB2_8
; %bb.5:
	s_waitcnt vmcnt(0)
	v_lshlrev_b32_e32 v2, 16, v7
	v_and_b32_e32 v4, 0xffff0000, v5
	v_lshlrev_b32_e32 v5, 16, v5
	v_cmp_gt_f32_e32 vcc, v2, v4
	v_cndmask_b32_e64 v6, 0, 1, vcc
	v_cmp_gt_f32_e32 vcc, v4, v5
	v_cndmask_b32_e64 v4, 0, 1, vcc
	v_mov_b32_e32 v2, 1
	v_cmp_ne_u32_e32 vcc, 0, v0
	ds_write_b16 v3, v7
	s_waitcnt lgkmcnt(0)
	; wave barrier
	s_waitcnt lgkmcnt(0)
	s_and_saveexec_b64 s[0:1], vcc
	s_cbranch_execz .LBB2_7
; %bb.6:
	v_add_u32_e32 v0, -2, v3
	ds_read_u16 v0, v0
	s_waitcnt lgkmcnt(0)
	v_lshlrev_b32_e32 v0, 16, v0
	v_cmp_gt_f32_e32 vcc, v5, v0
	v_cndmask_b32_e64 v2, 0, 1, vcc
.LBB2_7:
	s_or_b64 exec, exec, s[0:1]
.LBB2_8:
	s_lshl_b64 s[0:1], s[4:5], 3
	s_add_u32 s0, s2, s0
	s_addc_u32 s1, s3, s1
	v_lshlrev_b32_e32 v0, 3, v1
	v_ashrrev_i32_e32 v3, 31, v2
	s_waitcnt vmcnt(1)
	v_ashrrev_i32_e32 v5, 31, v4
	s_waitcnt vmcnt(0)
	v_ashrrev_i32_e32 v7, 31, v6
	global_store_dwordx4 v0, v[2:5], s[0:1]
	global_store_dwordx2 v0, v[6:7], s[0:1] offset:16
	s_endpgm
	.section	.rodata,"a",@progbits
	.p2align	6, 0x0
	.amdhsa_kernel _Z17flag_heads_kernelI12hip_bfloat16iN10test_utils7greaterELj37ELj3EEvPT_Px
		.amdhsa_group_segment_fixed_size 148
		.amdhsa_private_segment_fixed_size 0
		.amdhsa_kernarg_size 16
		.amdhsa_user_sgpr_count 6
		.amdhsa_user_sgpr_private_segment_buffer 1
		.amdhsa_user_sgpr_dispatch_ptr 0
		.amdhsa_user_sgpr_queue_ptr 0
		.amdhsa_user_sgpr_kernarg_segment_ptr 1
		.amdhsa_user_sgpr_dispatch_id 0
		.amdhsa_user_sgpr_flat_scratch_init 0
		.amdhsa_user_sgpr_kernarg_preload_length 0
		.amdhsa_user_sgpr_kernarg_preload_offset 0
		.amdhsa_user_sgpr_private_segment_size 0
		.amdhsa_uses_dynamic_stack 0
		.amdhsa_system_sgpr_private_segment_wavefront_offset 0
		.amdhsa_system_sgpr_workgroup_id_x 1
		.amdhsa_system_sgpr_workgroup_id_y 0
		.amdhsa_system_sgpr_workgroup_id_z 0
		.amdhsa_system_sgpr_workgroup_info 0
		.amdhsa_system_vgpr_workitem_id 0
		.amdhsa_next_free_vgpr 9
		.amdhsa_next_free_sgpr 10
		.amdhsa_accum_offset 12
		.amdhsa_reserve_vcc 1
		.amdhsa_reserve_flat_scratch 0
		.amdhsa_float_round_mode_32 0
		.amdhsa_float_round_mode_16_64 0
		.amdhsa_float_denorm_mode_32 3
		.amdhsa_float_denorm_mode_16_64 3
		.amdhsa_dx10_clamp 1
		.amdhsa_ieee_mode 1
		.amdhsa_fp16_overflow 0
		.amdhsa_tg_split 0
		.amdhsa_exception_fp_ieee_invalid_op 0
		.amdhsa_exception_fp_denorm_src 0
		.amdhsa_exception_fp_ieee_div_zero 0
		.amdhsa_exception_fp_ieee_overflow 0
		.amdhsa_exception_fp_ieee_underflow 0
		.amdhsa_exception_fp_ieee_inexact 0
		.amdhsa_exception_int_div_zero 0
	.end_amdhsa_kernel
	.section	.text._Z17flag_heads_kernelI12hip_bfloat16iN10test_utils7greaterELj37ELj3EEvPT_Px,"axG",@progbits,_Z17flag_heads_kernelI12hip_bfloat16iN10test_utils7greaterELj37ELj3EEvPT_Px,comdat
.Lfunc_end2:
	.size	_Z17flag_heads_kernelI12hip_bfloat16iN10test_utils7greaterELj37ELj3EEvPT_Px, .Lfunc_end2-_Z17flag_heads_kernelI12hip_bfloat16iN10test_utils7greaterELj37ELj3EEvPT_Px
                                        ; -- End function
	.section	.AMDGPU.csdata,"",@progbits
; Kernel info:
; codeLenInByte = 392
; NumSgprs: 14
; NumVgprs: 9
; NumAgprs: 0
; TotalNumVgprs: 9
; ScratchSize: 0
; MemoryBound: 0
; FloatMode: 240
; IeeeMode: 1
; LDSByteSize: 148 bytes/workgroup (compile time only)
; SGPRBlocks: 1
; VGPRBlocks: 1
; NumSGPRsForWavesPerEU: 14
; NumVGPRsForWavesPerEU: 9
; AccumOffset: 12
; Occupancy: 8
; WaveLimiterHint : 0
; COMPUTE_PGM_RSRC2:SCRATCH_EN: 0
; COMPUTE_PGM_RSRC2:USER_SGPR: 6
; COMPUTE_PGM_RSRC2:TRAP_HANDLER: 0
; COMPUTE_PGM_RSRC2:TGID_X_EN: 1
; COMPUTE_PGM_RSRC2:TGID_Y_EN: 0
; COMPUTE_PGM_RSRC2:TGID_Z_EN: 0
; COMPUTE_PGM_RSRC2:TIDIG_COMP_CNT: 0
; COMPUTE_PGM_RSRC3_GFX90A:ACCUM_OFFSET: 2
; COMPUTE_PGM_RSRC3_GFX90A:TG_SPLIT: 0
	.section	.text._Z17flag_heads_kernelI6__halfiN10test_utils7greaterELj37ELj5EEvPT_Px,"axG",@progbits,_Z17flag_heads_kernelI6__halfiN10test_utils7greaterELj37ELj5EEvPT_Px,comdat
	.protected	_Z17flag_heads_kernelI6__halfiN10test_utils7greaterELj37ELj5EEvPT_Px ; -- Begin function _Z17flag_heads_kernelI6__halfiN10test_utils7greaterELj37ELj5EEvPT_Px
	.globl	_Z17flag_heads_kernelI6__halfiN10test_utils7greaterELj37ELj5EEvPT_Px
	.p2align	8
	.type	_Z17flag_heads_kernelI6__halfiN10test_utils7greaterELj37ELj5EEvPT_Px,@function
_Z17flag_heads_kernelI6__halfiN10test_utils7greaterELj37ELj5EEvPT_Px: ; @_Z17flag_heads_kernelI6__halfiN10test_utils7greaterELj37ELj5EEvPT_Px
; %bb.0:
	s_load_dwordx4 s[8:11], s[4:5], 0x0
	s_mul_i32 s2, s6, 0xb9
	s_mov_b32 s3, 0
	s_lshl_b64 s[0:1], s[2:3], 1
	v_mul_u32_u24_e32 v1, 5, v0
	s_waitcnt lgkmcnt(0)
	s_add_u32 s0, s8, s0
	s_addc_u32 s1, s9, s1
	v_lshlrev_b32_e32 v2, 1, v1
	global_load_ushort v5, v2, s[0:1] offset:8
	global_load_dwordx2 v[8:9], v2, s[0:1]
	s_bitcmp0_b32 s6, 0
	v_cmp_ne_u32_e64 s[0:1], 0, v0
	v_lshlrev_b32_e32 v3, 1, v0
	s_cbranch_scc1 .LBB3_4
; %bb.1:
	s_add_i32 s4, s2, -1
	s_mov_b32 s5, s3
	s_lshl_b64 s[4:5], s[4:5], 1
	s_add_u32 s4, s8, s4
	s_addc_u32 s5, s9, s5
	v_mov_b32_e32 v0, 0
	global_load_ushort v4, v0, s[4:5]
	s_waitcnt vmcnt(2)
	ds_write_b16 v3, v5
	s_waitcnt lgkmcnt(0)
	; wave barrier
	s_waitcnt lgkmcnt(0)
	s_and_saveexec_b64 s[4:5], s[0:1]
	s_cbranch_execz .LBB3_3
; %bb.2:
	v_add_u32_e32 v0, -2, v3
	s_waitcnt vmcnt(0)
	ds_read_u16 v4, v0
.LBB3_3:
	s_or_b64 exec, exec, s[4:5]
	s_waitcnt vmcnt(1)
	v_cmp_lt_f16_sdwa s[4:5], v9, v5 src0_sel:WORD_1 src1_sel:DWORD
	v_cndmask_b32_e64 v10, 0, 1, s[4:5]
	v_cmp_gt_f16_sdwa s[4:5], v9, v9 src0_sel:WORD_1 src1_sel:DWORD
	v_cndmask_b32_e64 v2, 0, 1, s[4:5]
	v_cmp_gt_f16_sdwa s[4:5], v9, v8 src0_sel:DWORD src1_sel:WORD_1
	v_cndmask_b32_e64 v0, 0, 1, s[4:5]
	v_cmp_gt_f16_sdwa s[4:5], v8, v8 src0_sel:WORD_1 src1_sel:DWORD
	s_waitcnt vmcnt(0) lgkmcnt(0)
	v_cmp_gt_f16_e32 vcc, v8, v4
	v_cndmask_b32_e64 v6, 0, 1, s[4:5]
	v_cndmask_b32_e64 v4, 0, 1, vcc
	s_branch .LBB3_8
.LBB3_4:
                                        ; implicit-def: $vgpr10
                                        ; implicit-def: $vgpr2
                                        ; implicit-def: $vgpr6
	s_cbranch_execz .LBB3_8
; %bb.5:
	s_waitcnt vmcnt(0)
	v_cmp_lt_f16_sdwa s[4:5], v9, v5 src0_sel:WORD_1 src1_sel:DWORD
	v_cmp_gt_f16_sdwa s[6:7], v9, v9 src0_sel:WORD_1 src1_sel:DWORD
	v_cmp_gt_f16_sdwa s[8:9], v9, v8 src0_sel:DWORD src1_sel:WORD_1
	v_cmp_gt_f16_sdwa s[12:13], v8, v8 src0_sel:WORD_1 src1_sel:DWORD
	v_mov_b32_e32 v4, 1
	ds_write_b16 v3, v5
	s_waitcnt lgkmcnt(0)
	; wave barrier
	s_waitcnt lgkmcnt(0)
	s_and_saveexec_b64 s[14:15], s[0:1]
	s_cbranch_execz .LBB3_7
; %bb.6:
	v_add_u32_e32 v0, -2, v3
	ds_read_u16 v0, v0
	s_waitcnt lgkmcnt(0)
	v_cmp_gt_f16_e32 vcc, v8, v0
	v_cndmask_b32_e64 v4, 0, 1, vcc
.LBB3_7:
	s_or_b64 exec, exec, s[14:15]
	v_cndmask_b32_e64 v10, 0, 1, s[4:5]
	v_cndmask_b32_e64 v2, 0, 1, s[6:7]
	;; [unrolled: 1-line block ×4, first 2 shown]
.LBB3_8:
	s_lshl_b64 s[0:1], s[2:3], 3
	s_add_u32 s0, s10, s0
	s_addc_u32 s1, s11, s1
	s_waitcnt vmcnt(0)
	v_lshlrev_b32_e32 v8, 3, v1
	v_ashrrev_i32_e32 v5, 31, v4
	v_ashrrev_i32_e32 v7, 31, v6
	;; [unrolled: 1-line block ×5, first 2 shown]
	global_store_dwordx4 v8, v[4:7], s[0:1]
	global_store_dwordx4 v8, v[0:3], s[0:1] offset:16
	global_store_dwordx2 v8, v[10:11], s[0:1] offset:32
	s_endpgm
	.section	.rodata,"a",@progbits
	.p2align	6, 0x0
	.amdhsa_kernel _Z17flag_heads_kernelI6__halfiN10test_utils7greaterELj37ELj5EEvPT_Px
		.amdhsa_group_segment_fixed_size 148
		.amdhsa_private_segment_fixed_size 0
		.amdhsa_kernarg_size 16
		.amdhsa_user_sgpr_count 6
		.amdhsa_user_sgpr_private_segment_buffer 1
		.amdhsa_user_sgpr_dispatch_ptr 0
		.amdhsa_user_sgpr_queue_ptr 0
		.amdhsa_user_sgpr_kernarg_segment_ptr 1
		.amdhsa_user_sgpr_dispatch_id 0
		.amdhsa_user_sgpr_flat_scratch_init 0
		.amdhsa_user_sgpr_kernarg_preload_length 0
		.amdhsa_user_sgpr_kernarg_preload_offset 0
		.amdhsa_user_sgpr_private_segment_size 0
		.amdhsa_uses_dynamic_stack 0
		.amdhsa_system_sgpr_private_segment_wavefront_offset 0
		.amdhsa_system_sgpr_workgroup_id_x 1
		.amdhsa_system_sgpr_workgroup_id_y 0
		.amdhsa_system_sgpr_workgroup_id_z 0
		.amdhsa_system_sgpr_workgroup_info 0
		.amdhsa_system_vgpr_workitem_id 0
		.amdhsa_next_free_vgpr 12
		.amdhsa_next_free_sgpr 16
		.amdhsa_accum_offset 12
		.amdhsa_reserve_vcc 1
		.amdhsa_reserve_flat_scratch 0
		.amdhsa_float_round_mode_32 0
		.amdhsa_float_round_mode_16_64 0
		.amdhsa_float_denorm_mode_32 3
		.amdhsa_float_denorm_mode_16_64 3
		.amdhsa_dx10_clamp 1
		.amdhsa_ieee_mode 1
		.amdhsa_fp16_overflow 0
		.amdhsa_tg_split 0
		.amdhsa_exception_fp_ieee_invalid_op 0
		.amdhsa_exception_fp_denorm_src 0
		.amdhsa_exception_fp_ieee_div_zero 0
		.amdhsa_exception_fp_ieee_overflow 0
		.amdhsa_exception_fp_ieee_underflow 0
		.amdhsa_exception_fp_ieee_inexact 0
		.amdhsa_exception_int_div_zero 0
	.end_amdhsa_kernel
	.section	.text._Z17flag_heads_kernelI6__halfiN10test_utils7greaterELj37ELj5EEvPT_Px,"axG",@progbits,_Z17flag_heads_kernelI6__halfiN10test_utils7greaterELj37ELj5EEvPT_Px,comdat
.Lfunc_end3:
	.size	_Z17flag_heads_kernelI6__halfiN10test_utils7greaterELj37ELj5EEvPT_Px, .Lfunc_end3-_Z17flag_heads_kernelI6__halfiN10test_utils7greaterELj37ELj5EEvPT_Px
                                        ; -- End function
	.section	.AMDGPU.csdata,"",@progbits
; Kernel info:
; codeLenInByte = 448
; NumSgprs: 20
; NumVgprs: 12
; NumAgprs: 0
; TotalNumVgprs: 12
; ScratchSize: 0
; MemoryBound: 0
; FloatMode: 240
; IeeeMode: 1
; LDSByteSize: 148 bytes/workgroup (compile time only)
; SGPRBlocks: 2
; VGPRBlocks: 1
; NumSGPRsForWavesPerEU: 20
; NumVGPRsForWavesPerEU: 12
; AccumOffset: 12
; Occupancy: 8
; WaveLimiterHint : 0
; COMPUTE_PGM_RSRC2:SCRATCH_EN: 0
; COMPUTE_PGM_RSRC2:USER_SGPR: 6
; COMPUTE_PGM_RSRC2:TRAP_HANDLER: 0
; COMPUTE_PGM_RSRC2:TGID_X_EN: 1
; COMPUTE_PGM_RSRC2:TGID_Y_EN: 0
; COMPUTE_PGM_RSRC2:TGID_Z_EN: 0
; COMPUTE_PGM_RSRC2:TIDIG_COMP_CNT: 0
; COMPUTE_PGM_RSRC3_GFX90A:ACCUM_OFFSET: 2
; COMPUTE_PGM_RSRC3_GFX90A:TG_SPLIT: 0
	.section	.text._Z17flag_heads_kernelIdjN6hipcub8EqualityELj464ELj2EEvPT_Px,"axG",@progbits,_Z17flag_heads_kernelIdjN6hipcub8EqualityELj464ELj2EEvPT_Px,comdat
	.protected	_Z17flag_heads_kernelIdjN6hipcub8EqualityELj464ELj2EEvPT_Px ; -- Begin function _Z17flag_heads_kernelIdjN6hipcub8EqualityELj464ELj2EEvPT_Px
	.globl	_Z17flag_heads_kernelIdjN6hipcub8EqualityELj464ELj2EEvPT_Px
	.p2align	8
	.type	_Z17flag_heads_kernelIdjN6hipcub8EqualityELj464ELj2EEvPT_Px,@function
_Z17flag_heads_kernelIdjN6hipcub8EqualityELj464ELj2EEvPT_Px: ; @_Z17flag_heads_kernelIdjN6hipcub8EqualityELj464ELj2EEvPT_Px
; %bb.0:
	s_load_dwordx4 s[0:3], s[4:5], 0x0
	s_mul_i32 s8, s6, 0x3a0
	s_mov_b32 s9, 0
	s_lshl_b64 s[4:5], s[8:9], 3
	v_lshlrev_b32_e32 v1, 4, v0
	s_waitcnt lgkmcnt(0)
	s_add_u32 s10, s0, s4
	s_addc_u32 s11, s1, s5
	global_load_dwordx4 v[2:5], v1, s[10:11]
	v_lshlrev_b32_e32 v1, 1, v0
	s_bitcmp0_b32 s6, 0
	v_lshlrev_b32_e32 v9, 3, v0
	v_cmp_ne_u32_e32 vcc, 0, v0
	s_cbranch_scc1 .LBB4_4
; %bb.1:
	s_add_i32 s8, s8, -1
	s_lshl_b64 s[6:7], s[8:9], 3
	s_add_u32 s0, s0, s6
	s_addc_u32 s1, s1, s7
	s_load_dwordx2 s[0:1], s[0:1], 0x0
	s_waitcnt vmcnt(0)
	ds_write_b64 v9, v[4:5]
	s_waitcnt lgkmcnt(0)
	s_barrier
	v_pk_mov_b32 v[6:7], s[0:1], s[0:1] op_sel:[0,1]
	s_and_saveexec_b64 s[0:1], vcc
	s_cbranch_execz .LBB4_3
; %bb.2:
	v_add_u32_e32 v6, -8, v9
	ds_read_b64 v[6:7], v6
.LBB4_3:
	s_or_b64 exec, exec, s[0:1]
	v_cmp_eq_f64_e32 vcc, v[4:5], v[2:3]
	v_cndmask_b32_e64 v8, 0, 1, vcc
	s_waitcnt lgkmcnt(0)
	v_cmp_eq_f64_e32 vcc, v[2:3], v[6:7]
	v_cndmask_b32_e64 v6, 0, 1, vcc
	s_branch .LBB4_8
.LBB4_4:
                                        ; implicit-def: $vgpr8
	s_cbranch_execz .LBB4_8
; %bb.5:
	s_waitcnt vmcnt(0)
	v_cmp_eq_f64_e32 vcc, v[4:5], v[2:3]
	v_cmp_ne_u32_e64 s[0:1], 0, v0
	v_mov_b32_e32 v6, 1
	ds_write_b64 v9, v[4:5]
	s_waitcnt lgkmcnt(0)
	s_barrier
	s_and_saveexec_b64 s[6:7], s[0:1]
	s_cbranch_execz .LBB4_7
; %bb.6:
	v_add_u32_e32 v0, -8, v9
	ds_read_b64 v[4:5], v0
	s_waitcnt lgkmcnt(0)
	v_cmp_eq_f64_e64 s[0:1], v[2:3], v[4:5]
	v_cndmask_b32_e64 v6, 0, 1, s[0:1]
.LBB4_7:
	s_or_b64 exec, exec, s[6:7]
	v_cndmask_b32_e64 v8, 0, 1, vcc
.LBB4_8:
	s_add_u32 s0, s2, s4
	v_mov_b32_e32 v7, 0
	s_addc_u32 s1, s3, s5
	v_lshlrev_b32_e32 v0, 3, v1
	v_mov_b32_e32 v9, v7
	global_store_dwordx4 v0, v[6:9], s[0:1]
	s_endpgm
	.section	.rodata,"a",@progbits
	.p2align	6, 0x0
	.amdhsa_kernel _Z17flag_heads_kernelIdjN6hipcub8EqualityELj464ELj2EEvPT_Px
		.amdhsa_group_segment_fixed_size 7424
		.amdhsa_private_segment_fixed_size 0
		.amdhsa_kernarg_size 16
		.amdhsa_user_sgpr_count 6
		.amdhsa_user_sgpr_private_segment_buffer 1
		.amdhsa_user_sgpr_dispatch_ptr 0
		.amdhsa_user_sgpr_queue_ptr 0
		.amdhsa_user_sgpr_kernarg_segment_ptr 1
		.amdhsa_user_sgpr_dispatch_id 0
		.amdhsa_user_sgpr_flat_scratch_init 0
		.amdhsa_user_sgpr_kernarg_preload_length 0
		.amdhsa_user_sgpr_kernarg_preload_offset 0
		.amdhsa_user_sgpr_private_segment_size 0
		.amdhsa_uses_dynamic_stack 0
		.amdhsa_system_sgpr_private_segment_wavefront_offset 0
		.amdhsa_system_sgpr_workgroup_id_x 1
		.amdhsa_system_sgpr_workgroup_id_y 0
		.amdhsa_system_sgpr_workgroup_id_z 0
		.amdhsa_system_sgpr_workgroup_info 0
		.amdhsa_system_vgpr_workitem_id 0
		.amdhsa_next_free_vgpr 10
		.amdhsa_next_free_sgpr 12
		.amdhsa_accum_offset 12
		.amdhsa_reserve_vcc 1
		.amdhsa_reserve_flat_scratch 0
		.amdhsa_float_round_mode_32 0
		.amdhsa_float_round_mode_16_64 0
		.amdhsa_float_denorm_mode_32 3
		.amdhsa_float_denorm_mode_16_64 3
		.amdhsa_dx10_clamp 1
		.amdhsa_ieee_mode 1
		.amdhsa_fp16_overflow 0
		.amdhsa_tg_split 0
		.amdhsa_exception_fp_ieee_invalid_op 0
		.amdhsa_exception_fp_denorm_src 0
		.amdhsa_exception_fp_ieee_div_zero 0
		.amdhsa_exception_fp_ieee_overflow 0
		.amdhsa_exception_fp_ieee_underflow 0
		.amdhsa_exception_fp_ieee_inexact 0
		.amdhsa_exception_int_div_zero 0
	.end_amdhsa_kernel
	.section	.text._Z17flag_heads_kernelIdjN6hipcub8EqualityELj464ELj2EEvPT_Px,"axG",@progbits,_Z17flag_heads_kernelIdjN6hipcub8EqualityELj464ELj2EEvPT_Px,comdat
.Lfunc_end4:
	.size	_Z17flag_heads_kernelIdjN6hipcub8EqualityELj464ELj2EEvPT_Px, .Lfunc_end4-_Z17flag_heads_kernelIdjN6hipcub8EqualityELj464ELj2EEvPT_Px
                                        ; -- End function
	.section	.AMDGPU.csdata,"",@progbits
; Kernel info:
; codeLenInByte = 300
; NumSgprs: 16
; NumVgprs: 10
; NumAgprs: 0
; TotalNumVgprs: 10
; ScratchSize: 0
; MemoryBound: 0
; FloatMode: 240
; IeeeMode: 1
; LDSByteSize: 7424 bytes/workgroup (compile time only)
; SGPRBlocks: 1
; VGPRBlocks: 1
; NumSGPRsForWavesPerEU: 16
; NumVGPRsForWavesPerEU: 10
; AccumOffset: 12
; Occupancy: 8
; WaveLimiterHint : 0
; COMPUTE_PGM_RSRC2:SCRATCH_EN: 0
; COMPUTE_PGM_RSRC2:USER_SGPR: 6
; COMPUTE_PGM_RSRC2:TRAP_HANDLER: 0
; COMPUTE_PGM_RSRC2:TGID_X_EN: 1
; COMPUTE_PGM_RSRC2:TGID_Y_EN: 0
; COMPUTE_PGM_RSRC2:TGID_Z_EN: 0
; COMPUTE_PGM_RSRC2:TIDIG_COMP_CNT: 0
; COMPUTE_PGM_RSRC3_GFX90A:ACCUM_OFFSET: 2
; COMPUTE_PGM_RSRC3_GFX90A:TG_SPLIT: 0
	.section	.text._Z17flag_heads_kernelIdi15custom_flag_op2IdELj33ELj5EEvPT_Px,"axG",@progbits,_Z17flag_heads_kernelIdi15custom_flag_op2IdELj33ELj5EEvPT_Px,comdat
	.protected	_Z17flag_heads_kernelIdi15custom_flag_op2IdELj33ELj5EEvPT_Px ; -- Begin function _Z17flag_heads_kernelIdi15custom_flag_op2IdELj33ELj5EEvPT_Px
	.globl	_Z17flag_heads_kernelIdi15custom_flag_op2IdELj33ELj5EEvPT_Px
	.p2align	8
	.type	_Z17flag_heads_kernelIdi15custom_flag_op2IdELj33ELj5EEvPT_Px,@function
_Z17flag_heads_kernelIdi15custom_flag_op2IdELj33ELj5EEvPT_Px: ; @_Z17flag_heads_kernelIdi15custom_flag_op2IdELj33ELj5EEvPT_Px
; %bb.0:
	s_load_dwordx4 s[0:3], s[4:5], 0x0
	s_mul_i32 s8, s6, 0xa5
	s_mov_b32 s9, 0
	s_lshl_b64 s[4:5], s[8:9], 3
	v_mul_u32_u24_e32 v1, 5, v0
	s_waitcnt lgkmcnt(0)
	s_add_u32 s10, s0, s4
	s_addc_u32 s11, s1, s5
	v_lshlrev_b32_e32 v1, 3, v1
	global_load_dwordx4 v[2:5], v1, s[10:11]
	global_load_dwordx4 v[8:11], v1, s[10:11] offset:16
	global_load_dwordx2 v[12:13], v1, s[10:11] offset:32
	v_lshlrev_b32_e32 v7, 3, v0
	s_bitcmp0_b32 s6, 0
	v_cmp_ne_u32_e32 vcc, 0, v0
	s_waitcnt vmcnt(2)
	v_mov_b32_e32 v14, v4
	v_mov_b32_e32 v15, v5
	s_waitcnt vmcnt(1)
	v_mov_b32_e32 v18, v8
	v_mov_b32_e32 v19, v9
	;; [unrolled: 1-line block ×4, first 2 shown]
	s_cbranch_scc1 .LBB5_4
; %bb.1:
	s_add_i32 s8, s8, -1
	s_lshl_b64 s[6:7], s[8:9], 3
	s_add_u32 s0, s0, s6
	s_addc_u32 s1, s1, s7
	s_load_dwordx2 s[0:1], s[0:1], 0x0
	s_waitcnt vmcnt(0)
	ds_write_b64 v7, v[12:13]
	s_waitcnt lgkmcnt(0)
	; wave barrier
	s_waitcnt lgkmcnt(0)
	v_pk_mov_b32 v[8:9], s[0:1], s[0:1] op_sel:[0,1]
	s_and_saveexec_b64 s[0:1], vcc
	s_cbranch_execz .LBB5_3
; %bb.2:
	v_add_u32_e32 v4, -8, v7
	ds_read_b64 v[8:9], v4
.LBB5_3:
	s_or_b64 exec, exec, s[0:1]
	s_mov_b32 s0, 0
	v_add_f64 v[4:5], v[12:13], -v[20:21]
	s_mov_b32 s1, 0x40140000
	v_cmp_lt_f64_e32 vcc, s[0:1], v[4:5]
	v_add_f64 v[4:5], v[20:21], -v[18:19]
	v_cndmask_b32_e64 v16, 0, 1, vcc
	v_cmp_lt_f64_e32 vcc, s[0:1], v[4:5]
	v_add_f64 v[4:5], v[18:19], -v[14:15]
	v_cndmask_b32_e64 v6, 0, 1, vcc
	;; [unrolled: 3-line block ×3, first 2 shown]
	v_cmp_lt_f64_e32 vcc, s[0:1], v[10:11]
	s_waitcnt lgkmcnt(0)
	v_add_f64 v[8:9], v[2:3], -v[8:9]
	v_cndmask_b32_e64 v10, 0, 1, vcc
	v_cmp_lt_f64_e32 vcc, s[0:1], v[8:9]
	v_cndmask_b32_e64 v8, 0, 1, vcc
	s_branch .LBB5_8
.LBB5_4:
                                        ; implicit-def: $vgpr16
                                        ; implicit-def: $vgpr6
                                        ; implicit-def: $vgpr10
	s_cbranch_execz .LBB5_8
; %bb.5:
	s_mov_b32 s0, 0
	s_mov_b32 s1, 0x40140000
	v_add_f64 v[4:5], v[18:19], -v[14:15]
	v_add_f64 v[10:11], v[14:15], -v[2:3]
	v_cmp_lt_f64_e32 vcc, s[0:1], v[4:5]
	s_waitcnt vmcnt(0)
	v_add_f64 v[8:9], v[12:13], -v[20:21]
	v_cndmask_b32_e64 v4, 0, 1, vcc
	v_cmp_lt_f64_e32 vcc, s[0:1], v[10:11]
	ds_write_b64 v7, v[12:13]
	v_add_f64 v[12:13], v[20:21], -v[18:19]
	v_cndmask_b32_e64 v10, 0, 1, vcc
	v_cmp_lt_f64_e32 vcc, s[0:1], v[8:9]
	v_cndmask_b32_e64 v16, 0, 1, vcc
	v_cmp_lt_f64_e32 vcc, s[0:1], v[12:13]
	v_cndmask_b32_e64 v6, 0, 1, vcc
	v_mov_b32_e32 v8, 1
	v_cmp_ne_u32_e32 vcc, 0, v0
	s_waitcnt lgkmcnt(0)
	; wave barrier
	s_waitcnt lgkmcnt(0)
	s_and_saveexec_b64 s[6:7], vcc
	s_cbranch_execz .LBB5_7
; %bb.6:
	v_add_u32_e32 v0, -8, v7
	ds_read_b64 v[8:9], v0
	s_waitcnt lgkmcnt(0)
	v_add_f64 v[2:3], v[2:3], -v[8:9]
	v_cmp_lt_f64_e32 vcc, s[0:1], v[2:3]
	v_cndmask_b32_e64 v8, 0, 1, vcc
.LBB5_7:
	s_or_b64 exec, exec, s[6:7]
.LBB5_8:
	s_add_u32 s0, s2, s4
	s_addc_u32 s1, s3, s5
	v_ashrrev_i32_e32 v9, 31, v8
	v_ashrrev_i32_e32 v11, 31, v10
	v_ashrrev_i32_e32 v5, 31, v4
	v_ashrrev_i32_e32 v7, 31, v6
	v_ashrrev_i32_e32 v17, 31, v16
	global_store_dwordx4 v1, v[8:11], s[0:1]
	global_store_dwordx4 v1, v[4:7], s[0:1] offset:16
	global_store_dwordx2 v1, v[16:17], s[0:1] offset:32
	s_endpgm
	.section	.rodata,"a",@progbits
	.p2align	6, 0x0
	.amdhsa_kernel _Z17flag_heads_kernelIdi15custom_flag_op2IdELj33ELj5EEvPT_Px
		.amdhsa_group_segment_fixed_size 528
		.amdhsa_private_segment_fixed_size 0
		.amdhsa_kernarg_size 16
		.amdhsa_user_sgpr_count 6
		.amdhsa_user_sgpr_private_segment_buffer 1
		.amdhsa_user_sgpr_dispatch_ptr 0
		.amdhsa_user_sgpr_queue_ptr 0
		.amdhsa_user_sgpr_kernarg_segment_ptr 1
		.amdhsa_user_sgpr_dispatch_id 0
		.amdhsa_user_sgpr_flat_scratch_init 0
		.amdhsa_user_sgpr_kernarg_preload_length 0
		.amdhsa_user_sgpr_kernarg_preload_offset 0
		.amdhsa_user_sgpr_private_segment_size 0
		.amdhsa_uses_dynamic_stack 0
		.amdhsa_system_sgpr_private_segment_wavefront_offset 0
		.amdhsa_system_sgpr_workgroup_id_x 1
		.amdhsa_system_sgpr_workgroup_id_y 0
		.amdhsa_system_sgpr_workgroup_id_z 0
		.amdhsa_system_sgpr_workgroup_info 0
		.amdhsa_system_vgpr_workitem_id 0
		.amdhsa_next_free_vgpr 22
		.amdhsa_next_free_sgpr 12
		.amdhsa_accum_offset 24
		.amdhsa_reserve_vcc 1
		.amdhsa_reserve_flat_scratch 0
		.amdhsa_float_round_mode_32 0
		.amdhsa_float_round_mode_16_64 0
		.amdhsa_float_denorm_mode_32 3
		.amdhsa_float_denorm_mode_16_64 3
		.amdhsa_dx10_clamp 1
		.amdhsa_ieee_mode 1
		.amdhsa_fp16_overflow 0
		.amdhsa_tg_split 0
		.amdhsa_exception_fp_ieee_invalid_op 0
		.amdhsa_exception_fp_denorm_src 0
		.amdhsa_exception_fp_ieee_div_zero 0
		.amdhsa_exception_fp_ieee_overflow 0
		.amdhsa_exception_fp_ieee_underflow 0
		.amdhsa_exception_fp_ieee_inexact 0
		.amdhsa_exception_int_div_zero 0
	.end_amdhsa_kernel
	.section	.text._Z17flag_heads_kernelIdi15custom_flag_op2IdELj33ELj5EEvPT_Px,"axG",@progbits,_Z17flag_heads_kernelIdi15custom_flag_op2IdELj33ELj5EEvPT_Px,comdat
.Lfunc_end5:
	.size	_Z17flag_heads_kernelIdi15custom_flag_op2IdELj33ELj5EEvPT_Px, .Lfunc_end5-_Z17flag_heads_kernelIdi15custom_flag_op2IdELj33ELj5EEvPT_Px
                                        ; -- End function
	.section	.AMDGPU.csdata,"",@progbits
; Kernel info:
; codeLenInByte = 540
; NumSgprs: 16
; NumVgprs: 22
; NumAgprs: 0
; TotalNumVgprs: 22
; ScratchSize: 0
; MemoryBound: 0
; FloatMode: 240
; IeeeMode: 1
; LDSByteSize: 528 bytes/workgroup (compile time only)
; SGPRBlocks: 1
; VGPRBlocks: 2
; NumSGPRsForWavesPerEU: 16
; NumVGPRsForWavesPerEU: 22
; AccumOffset: 24
; Occupancy: 8
; WaveLimiterHint : 0
; COMPUTE_PGM_RSRC2:SCRATCH_EN: 0
; COMPUTE_PGM_RSRC2:USER_SGPR: 6
; COMPUTE_PGM_RSRC2:TRAP_HANDLER: 0
; COMPUTE_PGM_RSRC2:TGID_X_EN: 1
; COMPUTE_PGM_RSRC2:TGID_Y_EN: 0
; COMPUTE_PGM_RSRC2:TGID_Z_EN: 0
; COMPUTE_PGM_RSRC2:TIDIG_COMP_CNT: 0
; COMPUTE_PGM_RSRC3_GFX90A:ACCUM_OFFSET: 5
; COMPUTE_PGM_RSRC3_GFX90A:TG_SPLIT: 0
	.section	.text._Z17flag_heads_kernelIssN6hipcub8EqualityELj512ELj8EEvPT_Px,"axG",@progbits,_Z17flag_heads_kernelIssN6hipcub8EqualityELj512ELj8EEvPT_Px,comdat
	.protected	_Z17flag_heads_kernelIssN6hipcub8EqualityELj512ELj8EEvPT_Px ; -- Begin function _Z17flag_heads_kernelIssN6hipcub8EqualityELj512ELj8EEvPT_Px
	.globl	_Z17flag_heads_kernelIssN6hipcub8EqualityELj512ELj8EEvPT_Px
	.p2align	8
	.type	_Z17flag_heads_kernelIssN6hipcub8EqualityELj512ELj8EEvPT_Px,@function
_Z17flag_heads_kernelIssN6hipcub8EqualityELj512ELj8EEvPT_Px: ; @_Z17flag_heads_kernelIssN6hipcub8EqualityELj512ELj8EEvPT_Px
; %bb.0:
	s_load_dwordx4 s[0:3], s[4:5], 0x0
	s_lshl_b32 s4, s6, 12
	s_mov_b32 s5, 0
	s_lshl_b64 s[8:9], s[4:5], 1
	v_lshlrev_b32_e32 v1, 4, v0
	s_waitcnt lgkmcnt(0)
	s_add_u32 s8, s0, s8
	s_addc_u32 s9, s1, s9
	global_load_dwordx4 v[2:5], v1, s[8:9]
	v_lshlrev_b32_e32 v1, 3, v0
	v_lshlrev_b32_e32 v6, 1, v0
	s_bitcmp0_b32 s6, 0
	v_cmp_ne_u32_e32 vcc, 0, v0
	s_waitcnt vmcnt(0)
	v_alignbit_b32 v7, v3, v2, 16
	v_alignbit_b32 v3, v4, v3, 16
	;; [unrolled: 1-line block ×3, first 2 shown]
	v_lshrrev_b32_e32 v10, 16, v5
	s_cbranch_scc1 .LBB6_4
; %bb.1:
	s_add_i32 s6, s4, -1
	s_mov_b32 s7, s5
	s_lshl_b64 s[6:7], s[6:7], 1
	s_add_u32 s0, s0, s6
	s_addc_u32 s1, s1, s7
	v_mov_b32_e32 v5, 0
	global_load_ushort v5, v5, s[0:1]
	ds_write_b16 v6, v10
	s_waitcnt lgkmcnt(0)
	s_barrier
	s_and_saveexec_b64 s[0:1], vcc
	s_cbranch_execz .LBB6_3
; %bb.2:
	s_waitcnt vmcnt(0)
	v_add_u32_e32 v5, -2, v6
	ds_read_u16 v5, v5
.LBB6_3:
	s_or_b64 exec, exec, s[0:1]
	v_cmp_eq_u16_sdwa s[0:1], v10, v4 src0_sel:DWORD src1_sel:WORD_1
	v_cndmask_b32_e64 v12, 0, 1, s[0:1]
	v_cmp_eq_u16_sdwa s[0:1], v7, v7 src0_sel:DWORD src1_sel:WORD_1
	v_cndmask_b32_e64 v8, 0, 1, s[0:1]
	v_cmp_eq_u16_sdwa s[0:1], v3, v3 src0_sel:WORD_1 src1_sel:DWORD
	v_cndmask_b32_e64 v13, 0, 1, s[0:1]
	v_cmp_eq_u16_sdwa s[0:1], v3, v7 src0_sel:DWORD src1_sel:WORD_1
	s_waitcnt vmcnt(0) lgkmcnt(0)
	v_cmp_eq_u16_e32 vcc, v2, v5
	v_cndmask_b32_e64 v14, 0, 1, s[0:1]
	v_cmp_eq_u16_sdwa s[0:1], v4, v4 src0_sel:WORD_1 src1_sel:DWORD
	v_cndmask_b32_e64 v5, 0, 1, vcc
	v_cmp_eq_u16_e32 vcc, v7, v2
	v_cndmask_b32_e64 v15, 0, 1, s[0:1]
	v_cmp_eq_u16_sdwa s[0:1], v4, v3 src0_sel:DWORD src1_sel:WORD_1
	v_cndmask_b32_e64 v9, 0, 1, vcc
	v_cndmask_b32_e64 v16, 0, 1, s[0:1]
	s_mov_b32 s0, 0x5040100
	v_perm_b32 v11, v9, v5, s0
	v_perm_b32 v9, v14, v8, s0
	;; [unrolled: 1-line block ×4, first 2 shown]
	s_branch .LBB6_8
.LBB6_4:
                                        ; implicit-def: $vgpr5
                                        ; implicit-def: $vgpr8
                                        ; implicit-def: $vgpr9
                                        ; implicit-def: $vgpr11
	s_cbranch_execz .LBB6_8
; %bb.5:
	v_cmp_eq_u16_sdwa s[0:1], v10, v4 src0_sel:DWORD src1_sel:WORD_1
	v_cndmask_b32_e64 v5, 0, 1, s[0:1]
	v_cmp_eq_u16_sdwa s[0:1], v7, v7 src0_sel:WORD_1 src1_sel:DWORD
	v_cmp_eq_u16_e32 vcc, v7, v2
	ds_write_b16 v6, v10
	v_cndmask_b32_e64 v8, 0, 1, s[0:1]
	v_cndmask_b32_e64 v9, 0, 1, vcc
	v_mov_b32_e32 v10, 0x5040100
	v_cmp_eq_u16_sdwa s[0:1], v3, v3 src0_sel:WORD_1 src1_sel:DWORD
	v_perm_b32 v11, v9, 1, v10
	v_cndmask_b32_e64 v10, 0, 1, s[0:1]
	v_cmp_eq_u16_sdwa s[0:1], v3, v7 src0_sel:DWORD src1_sel:WORD_1
	s_mov_b32 s6, 0x5040100
	v_cndmask_b32_e64 v7, 0, 1, s[0:1]
	v_cmp_eq_u16_sdwa s[0:1], v4, v4 src0_sel:WORD_1 src1_sel:DWORD
	v_perm_b32 v9, v7, v8, s6
	v_cndmask_b32_e64 v7, 0, 1, s[0:1]
	v_cmp_eq_u16_sdwa s[0:1], v4, v3 src0_sel:DWORD src1_sel:WORD_1
	v_cndmask_b32_e64 v3, 0, 1, s[0:1]
	v_perm_b32 v8, v3, v10, s6
	v_perm_b32 v5, v5, v7, s6
	v_cmp_ne_u32_e32 vcc, 0, v0
	s_waitcnt lgkmcnt(0)
	s_barrier
	s_and_saveexec_b64 s[0:1], vcc
	s_cbranch_execz .LBB6_7
; %bb.6:
	v_add_u32_e32 v0, -2, v6
	ds_read_u16 v0, v0
	s_mov_b32 s6, 0xffff
	s_waitcnt lgkmcnt(0)
	v_cmp_eq_u16_e32 vcc, v2, v0
	v_cndmask_b32_e64 v0, 0, 1, vcc
	v_bfi_b32 v11, s6, v0, v11
.LBB6_7:
	s_or_b64 exec, exec, s[0:1]
.LBB6_8:
	s_lshl_b64 s[0:1], s[4:5], 3
	v_lshrrev_b32_e32 v2, 16, v11
	s_add_u32 s0, s2, s0
	v_bfe_i32 v0, v11, 0, 16
	v_bfe_i32 v2, v2, 0, 16
	s_addc_u32 s1, s3, s1
	v_lshlrev_b32_e32 v4, 3, v1
	v_ashrrev_i32_e32 v1, 31, v0
	v_ashrrev_i32_e32 v3, 31, v2
	global_store_dwordx4 v4, v[0:3], s[0:1]
	s_nop 0
	v_lshrrev_b32_e32 v2, 16, v9
	v_bfe_i32 v0, v9, 0, 16
	v_bfe_i32 v2, v2, 0, 16
	v_ashrrev_i32_e32 v1, 31, v0
	v_ashrrev_i32_e32 v3, 31, v2
	global_store_dwordx4 v4, v[0:3], s[0:1] offset:16
	s_nop 0
	v_lshrrev_b32_e32 v2, 16, v8
	v_bfe_i32 v0, v8, 0, 16
	v_bfe_i32 v2, v2, 0, 16
	v_ashrrev_i32_e32 v1, 31, v0
	v_ashrrev_i32_e32 v3, 31, v2
	global_store_dwordx4 v4, v[0:3], s[0:1] offset:32
	;; [unrolled: 7-line block ×3, first 2 shown]
	s_endpgm
	.section	.rodata,"a",@progbits
	.p2align	6, 0x0
	.amdhsa_kernel _Z17flag_heads_kernelIssN6hipcub8EqualityELj512ELj8EEvPT_Px
		.amdhsa_group_segment_fixed_size 2048
		.amdhsa_private_segment_fixed_size 0
		.amdhsa_kernarg_size 16
		.amdhsa_user_sgpr_count 6
		.amdhsa_user_sgpr_private_segment_buffer 1
		.amdhsa_user_sgpr_dispatch_ptr 0
		.amdhsa_user_sgpr_queue_ptr 0
		.amdhsa_user_sgpr_kernarg_segment_ptr 1
		.amdhsa_user_sgpr_dispatch_id 0
		.amdhsa_user_sgpr_flat_scratch_init 0
		.amdhsa_user_sgpr_kernarg_preload_length 0
		.amdhsa_user_sgpr_kernarg_preload_offset 0
		.amdhsa_user_sgpr_private_segment_size 0
		.amdhsa_uses_dynamic_stack 0
		.amdhsa_system_sgpr_private_segment_wavefront_offset 0
		.amdhsa_system_sgpr_workgroup_id_x 1
		.amdhsa_system_sgpr_workgroup_id_y 0
		.amdhsa_system_sgpr_workgroup_id_z 0
		.amdhsa_system_sgpr_workgroup_info 0
		.amdhsa_system_vgpr_workitem_id 0
		.amdhsa_next_free_vgpr 17
		.amdhsa_next_free_sgpr 10
		.amdhsa_accum_offset 20
		.amdhsa_reserve_vcc 1
		.amdhsa_reserve_flat_scratch 0
		.amdhsa_float_round_mode_32 0
		.amdhsa_float_round_mode_16_64 0
		.amdhsa_float_denorm_mode_32 3
		.amdhsa_float_denorm_mode_16_64 3
		.amdhsa_dx10_clamp 1
		.amdhsa_ieee_mode 1
		.amdhsa_fp16_overflow 0
		.amdhsa_tg_split 0
		.amdhsa_exception_fp_ieee_invalid_op 0
		.amdhsa_exception_fp_denorm_src 0
		.amdhsa_exception_fp_ieee_div_zero 0
		.amdhsa_exception_fp_ieee_overflow 0
		.amdhsa_exception_fp_ieee_underflow 0
		.amdhsa_exception_fp_ieee_inexact 0
		.amdhsa_exception_int_div_zero 0
	.end_amdhsa_kernel
	.section	.text._Z17flag_heads_kernelIssN6hipcub8EqualityELj512ELj8EEvPT_Px,"axG",@progbits,_Z17flag_heads_kernelIssN6hipcub8EqualityELj512ELj8EEvPT_Px,comdat
.Lfunc_end6:
	.size	_Z17flag_heads_kernelIssN6hipcub8EqualityELj512ELj8EEvPT_Px, .Lfunc_end6-_Z17flag_heads_kernelIssN6hipcub8EqualityELj512ELj8EEvPT_Px
                                        ; -- End function
	.section	.AMDGPU.csdata,"",@progbits
; Kernel info:
; codeLenInByte = 752
; NumSgprs: 14
; NumVgprs: 17
; NumAgprs: 0
; TotalNumVgprs: 17
; ScratchSize: 0
; MemoryBound: 0
; FloatMode: 240
; IeeeMode: 1
; LDSByteSize: 2048 bytes/workgroup (compile time only)
; SGPRBlocks: 1
; VGPRBlocks: 2
; NumSGPRsForWavesPerEU: 14
; NumVGPRsForWavesPerEU: 17
; AccumOffset: 20
; Occupancy: 8
; WaveLimiterHint : 0
; COMPUTE_PGM_RSRC2:SCRATCH_EN: 0
; COMPUTE_PGM_RSRC2:USER_SGPR: 6
; COMPUTE_PGM_RSRC2:TRAP_HANDLER: 0
; COMPUTE_PGM_RSRC2:TGID_X_EN: 1
; COMPUTE_PGM_RSRC2:TGID_Y_EN: 0
; COMPUTE_PGM_RSRC2:TGID_Z_EN: 0
; COMPUTE_PGM_RSRC2:TIDIG_COMP_CNT: 0
; COMPUTE_PGM_RSRC3_GFX90A:ACCUM_OFFSET: 4
; COMPUTE_PGM_RSRC3_GFX90A:TG_SPLIT: 0
	.section	.text._Z17flag_heads_kernelIth15custom_flag_op2ItELj256ELj7EEvPT_Px,"axG",@progbits,_Z17flag_heads_kernelIth15custom_flag_op2ItELj256ELj7EEvPT_Px,comdat
	.protected	_Z17flag_heads_kernelIth15custom_flag_op2ItELj256ELj7EEvPT_Px ; -- Begin function _Z17flag_heads_kernelIth15custom_flag_op2ItELj256ELj7EEvPT_Px
	.globl	_Z17flag_heads_kernelIth15custom_flag_op2ItELj256ELj7EEvPT_Px
	.p2align	8
	.type	_Z17flag_heads_kernelIth15custom_flag_op2ItELj256ELj7EEvPT_Px,@function
_Z17flag_heads_kernelIth15custom_flag_op2ItELj256ELj7EEvPT_Px: ; @_Z17flag_heads_kernelIth15custom_flag_op2ItELj256ELj7EEvPT_Px
; %bb.0:
	s_load_dwordx4 s[0:3], s[4:5], 0x0
	s_mul_i32 s4, s6, 0x700
	s_mov_b32 s5, 0
	s_lshl_b64 s[8:9], s[4:5], 1
	v_mul_u32_u24_e32 v1, 7, v0
	s_waitcnt lgkmcnt(0)
	s_add_u32 s8, s0, s8
	s_addc_u32 s9, s1, s9
	v_lshlrev_b32_e32 v5, 1, v1
	global_load_ushort v8, v5, s[8:9] offset:12
	global_load_dwordx3 v[2:4], v5, s[8:9]
	s_bitcmp0_b32 s6, 0
	v_lshlrev_b32_e32 v6, 1, v0
	v_cmp_ne_u32_e32 vcc, 0, v0
	s_cbranch_scc1 .LBB7_4
; %bb.1:
	s_add_i32 s6, s4, -1
	s_mov_b32 s7, s5
	s_lshl_b64 s[6:7], s[6:7], 1
	s_add_u32 s0, s0, s6
	s_addc_u32 s1, s1, s7
	v_mov_b32_e32 v5, 0
	global_load_ushort v10, v5, s[0:1]
	s_waitcnt vmcnt(2)
	ds_write_b16 v6, v8
	s_waitcnt lgkmcnt(0)
	s_barrier
	s_and_saveexec_b64 s[0:1], vcc
	s_cbranch_execz .LBB7_3
; %bb.2:
	v_add_u32_e32 v5, -2, v6
	s_waitcnt vmcnt(0)
	ds_read_u16 v10, v5
.LBB7_3:
	s_or_b64 exec, exec, s[0:1]
	v_and_b32_e32 v5, 0xffff, v8
	s_waitcnt vmcnt(1)
	v_sub_u32_sdwa v5, v5, v4 dst_sel:DWORD dst_unused:UNUSED_PAD src0_sel:DWORD src1_sel:WORD_1
	v_cmp_lt_i32_e32 vcc, 5, v5
	v_sub_u32_sdwa v5, v4, v4 dst_sel:DWORD dst_unused:UNUSED_PAD src0_sel:WORD_1 src1_sel:WORD_0
	v_cndmask_b32_e64 v9, 0, 1, vcc
	v_cmp_lt_i32_e32 vcc, 5, v5
	v_sub_u32_sdwa v7, v4, v3 dst_sel:DWORD dst_unused:UNUSED_PAD src0_sel:WORD_0 src1_sel:WORD_1
	v_cndmask_b32_e64 v5, 0, 1, vcc
	v_cmp_lt_i32_e32 vcc, 5, v7
	v_sub_u32_sdwa v11, v3, v3 dst_sel:DWORD dst_unused:UNUSED_PAD src0_sel:WORD_1 src1_sel:WORD_0
	v_cndmask_b32_e64 v7, 0, 1, vcc
	v_cmp_lt_i32_e32 vcc, 5, v11
	v_sub_u32_sdwa v12, v3, v2 dst_sel:DWORD dst_unused:UNUSED_PAD src0_sel:WORD_0 src1_sel:WORD_1
	v_cndmask_b32_e64 v11, 0, 1, vcc
	v_cmp_lt_i32_e32 vcc, 5, v12
	v_sub_u32_sdwa v13, v2, v2 dst_sel:DWORD dst_unused:UNUSED_PAD src0_sel:WORD_1 src1_sel:WORD_0
	s_waitcnt vmcnt(0) lgkmcnt(0)
	v_and_b32_e32 v10, 0xffff, v10
	v_cndmask_b32_e64 v12, 0, 1, vcc
	v_cmp_lt_i32_e32 vcc, 5, v13
	v_sub_u32_sdwa v10, v2, v10 dst_sel:DWORD dst_unused:UNUSED_PAD src0_sel:WORD_0 src1_sel:DWORD
	v_cndmask_b32_e64 v13, 0, 1, vcc
	v_cmp_lt_i32_e32 vcc, 5, v10
	v_cndmask_b32_e64 v10, 0, 1, vcc
	v_lshlrev_b16_e32 v13, 8, v13
	v_lshlrev_b16_e32 v11, 8, v11
	v_or_b32_e32 v10, v10, v13
	v_or_b32_sdwa v11, v12, v11 dst_sel:WORD_1 dst_unused:UNUSED_PAD src0_sel:DWORD src1_sel:DWORD
	v_or_b32_sdwa v10, v10, v11 dst_sel:DWORD dst_unused:UNUSED_PAD src0_sel:WORD_0 src1_sel:DWORD
	s_branch .LBB7_8
.LBB7_4:
                                        ; implicit-def: $vgpr9
                                        ; implicit-def: $vgpr5
                                        ; implicit-def: $vgpr7
                                        ; implicit-def: $vgpr10
	s_cbranch_execz .LBB7_8
; %bb.5:
	s_waitcnt vmcnt(1)
	v_and_b32_e32 v5, 0xffff, v8
	s_waitcnt vmcnt(0)
	v_sub_u32_sdwa v5, v5, v4 dst_sel:DWORD dst_unused:UNUSED_PAD src0_sel:DWORD src1_sel:WORD_1
	v_cmp_lt_i32_e32 vcc, 5, v5
	v_sub_u32_sdwa v5, v4, v4 dst_sel:DWORD dst_unused:UNUSED_PAD src0_sel:WORD_1 src1_sel:WORD_0
	v_cmp_lt_i32_e64 s[0:1], 5, v5
	v_sub_u32_sdwa v4, v4, v3 dst_sel:DWORD dst_unused:UNUSED_PAD src0_sel:WORD_0 src1_sel:WORD_1
	v_cndmask_b32_e64 v5, 0, 1, s[0:1]
	v_cmp_lt_i32_e64 s[0:1], 5, v4
	v_sub_u32_sdwa v4, v3, v3 dst_sel:DWORD dst_unused:UNUSED_PAD src0_sel:WORD_1 src1_sel:WORD_0
	v_cndmask_b32_e64 v7, 0, 1, s[0:1]
	v_cmp_lt_i32_e64 s[0:1], 5, v4
	v_sub_u32_sdwa v3, v3, v2 dst_sel:DWORD dst_unused:UNUSED_PAD src0_sel:WORD_0 src1_sel:WORD_1
	ds_write_b16 v6, v8
	v_cndmask_b32_e64 v4, 0, 1, s[0:1]
	v_cmp_lt_i32_e64 s[0:1], 5, v3
	v_sub_u32_sdwa v8, v2, v2 dst_sel:DWORD dst_unused:UNUSED_PAD src0_sel:WORD_1 src1_sel:WORD_0
	v_cndmask_b32_e64 v3, 0, 1, s[0:1]
	v_cmp_lt_i32_e64 s[0:1], 5, v8
	v_cndmask_b32_e64 v8, 0, 1, s[0:1]
	v_lshlrev_b16_e32 v4, 8, v4
	v_or_b32_sdwa v3, v3, v4 dst_sel:WORD_1 dst_unused:UNUSED_PAD src0_sel:DWORD src1_sel:DWORD
	v_lshlrev_b16_e32 v4, 8, v8
	v_or_b32_e32 v4, 1, v4
	v_or_b32_sdwa v10, v4, v3 dst_sel:DWORD dst_unused:UNUSED_PAD src0_sel:WORD_0 src1_sel:DWORD
	v_cmp_ne_u32_e64 s[0:1], 0, v0
	s_waitcnt lgkmcnt(0)
	s_barrier
	s_and_saveexec_b64 s[6:7], s[0:1]
	s_cbranch_execz .LBB7_7
; %bb.6:
	v_add_u32_e32 v0, -2, v6
	ds_read_u16 v0, v0
	v_mov_b32_e32 v3, 8
	v_lshrrev_b32_e32 v4, 24, v10
	v_lshrrev_b32_sdwa v3, v3, v10 dst_sel:BYTE_1 dst_unused:UNUSED_PAD src0_sel:DWORD src1_sel:DWORD
	s_waitcnt lgkmcnt(0)
	v_sub_u32_sdwa v0, v2, v0 dst_sel:DWORD dst_unused:UNUSED_PAD src0_sel:WORD_0 src1_sel:DWORD
	v_cmp_lt_i32_e64 s[0:1], 5, v0
	v_cndmask_b32_e64 v0, 0, 1, s[0:1]
	s_movk_i32 s0, 0xff
	v_or_b32_e32 v0, v0, v3
	v_lshlrev_b16_e32 v2, 8, v4
	v_and_b32_sdwa v3, v10, s0 dst_sel:DWORD dst_unused:UNUSED_PAD src0_sel:WORD_1 src1_sel:DWORD
	v_or_b32_sdwa v2, v3, v2 dst_sel:WORD_1 dst_unused:UNUSED_PAD src0_sel:DWORD src1_sel:DWORD
	v_or_b32_sdwa v10, v0, v2 dst_sel:DWORD dst_unused:UNUSED_PAD src0_sel:WORD_0 src1_sel:DWORD
.LBB7_7:
	s_or_b64 exec, exec, s[6:7]
	v_cndmask_b32_e64 v9, 0, 1, vcc
.LBB7_8:
	s_lshl_b64 s[0:1], s[4:5], 3
	s_add_u32 s0, s2, s0
	s_waitcnt vmcnt(0)
	v_lshlrev_b32_e32 v4, 3, v1
	v_mov_b32_e32 v1, 0
	s_addc_u32 s1, s3, s1
	v_and_b32_e32 v0, 0xff, v10
	v_bfe_u32 v2, v10, 8, 8
	v_mov_b32_e32 v3, v1
	global_store_dwordx4 v4, v[0:3], s[0:1]
	s_nop 0
	v_lshrrev_b32_e32 v2, 24, v10
	v_bfe_u32 v0, v10, 16, 8
	global_store_dwordx4 v4, v[0:3], s[0:1] offset:16
	s_nop 0
	v_and_b32_e32 v0, 0xff, v7
	v_and_b32_e32 v2, 0xff, v5
	global_store_dwordx4 v4, v[0:3], s[0:1] offset:32
	s_nop 0
	v_and_b32_e32 v0, 0xff, v9
	global_store_dwordx2 v4, v[0:1], s[0:1] offset:48
	s_endpgm
	.section	.rodata,"a",@progbits
	.p2align	6, 0x0
	.amdhsa_kernel _Z17flag_heads_kernelIth15custom_flag_op2ItELj256ELj7EEvPT_Px
		.amdhsa_group_segment_fixed_size 1024
		.amdhsa_private_segment_fixed_size 0
		.amdhsa_kernarg_size 16
		.amdhsa_user_sgpr_count 6
		.amdhsa_user_sgpr_private_segment_buffer 1
		.amdhsa_user_sgpr_dispatch_ptr 0
		.amdhsa_user_sgpr_queue_ptr 0
		.amdhsa_user_sgpr_kernarg_segment_ptr 1
		.amdhsa_user_sgpr_dispatch_id 0
		.amdhsa_user_sgpr_flat_scratch_init 0
		.amdhsa_user_sgpr_kernarg_preload_length 0
		.amdhsa_user_sgpr_kernarg_preload_offset 0
		.amdhsa_user_sgpr_private_segment_size 0
		.amdhsa_uses_dynamic_stack 0
		.amdhsa_system_sgpr_private_segment_wavefront_offset 0
		.amdhsa_system_sgpr_workgroup_id_x 1
		.amdhsa_system_sgpr_workgroup_id_y 0
		.amdhsa_system_sgpr_workgroup_id_z 0
		.amdhsa_system_sgpr_workgroup_info 0
		.amdhsa_system_vgpr_workitem_id 0
		.amdhsa_next_free_vgpr 14
		.amdhsa_next_free_sgpr 10
		.amdhsa_accum_offset 16
		.amdhsa_reserve_vcc 1
		.amdhsa_reserve_flat_scratch 0
		.amdhsa_float_round_mode_32 0
		.amdhsa_float_round_mode_16_64 0
		.amdhsa_float_denorm_mode_32 3
		.amdhsa_float_denorm_mode_16_64 3
		.amdhsa_dx10_clamp 1
		.amdhsa_ieee_mode 1
		.amdhsa_fp16_overflow 0
		.amdhsa_tg_split 0
		.amdhsa_exception_fp_ieee_invalid_op 0
		.amdhsa_exception_fp_denorm_src 0
		.amdhsa_exception_fp_ieee_div_zero 0
		.amdhsa_exception_fp_ieee_overflow 0
		.amdhsa_exception_fp_ieee_underflow 0
		.amdhsa_exception_fp_ieee_inexact 0
		.amdhsa_exception_int_div_zero 0
	.end_amdhsa_kernel
	.section	.text._Z17flag_heads_kernelIth15custom_flag_op2ItELj256ELj7EEvPT_Px,"axG",@progbits,_Z17flag_heads_kernelIth15custom_flag_op2ItELj256ELj7EEvPT_Px,comdat
.Lfunc_end7:
	.size	_Z17flag_heads_kernelIth15custom_flag_op2ItELj256ELj7EEvPT_Px, .Lfunc_end7-_Z17flag_heads_kernelIth15custom_flag_op2ItELj256ELj7EEvPT_Px
                                        ; -- End function
	.section	.AMDGPU.csdata,"",@progbits
; Kernel info:
; codeLenInByte = 796
; NumSgprs: 14
; NumVgprs: 14
; NumAgprs: 0
; TotalNumVgprs: 14
; ScratchSize: 0
; MemoryBound: 0
; FloatMode: 240
; IeeeMode: 1
; LDSByteSize: 1024 bytes/workgroup (compile time only)
; SGPRBlocks: 1
; VGPRBlocks: 1
; NumSGPRsForWavesPerEU: 14
; NumVGPRsForWavesPerEU: 14
; AccumOffset: 16
; Occupancy: 8
; WaveLimiterHint : 0
; COMPUTE_PGM_RSRC2:SCRATCH_EN: 0
; COMPUTE_PGM_RSRC2:USER_SGPR: 6
; COMPUTE_PGM_RSRC2:TRAP_HANDLER: 0
; COMPUTE_PGM_RSRC2:TGID_X_EN: 1
; COMPUTE_PGM_RSRC2:TGID_Y_EN: 0
; COMPUTE_PGM_RSRC2:TGID_Z_EN: 0
; COMPUTE_PGM_RSRC2:TIDIG_COMP_CNT: 0
; COMPUTE_PGM_RSRC3_GFX90A:ACCUM_OFFSET: 3
; COMPUTE_PGM_RSRC3_GFX90A:TG_SPLIT: 0
	.section	.text._Z17flag_heads_kernelIisN10test_utils4lessELj128ELj4EEvPT_Px,"axG",@progbits,_Z17flag_heads_kernelIisN10test_utils4lessELj128ELj4EEvPT_Px,comdat
	.protected	_Z17flag_heads_kernelIisN10test_utils4lessELj128ELj4EEvPT_Px ; -- Begin function _Z17flag_heads_kernelIisN10test_utils4lessELj128ELj4EEvPT_Px
	.globl	_Z17flag_heads_kernelIisN10test_utils4lessELj128ELj4EEvPT_Px
	.p2align	8
	.type	_Z17flag_heads_kernelIisN10test_utils4lessELj128ELj4EEvPT_Px,@function
_Z17flag_heads_kernelIisN10test_utils4lessELj128ELj4EEvPT_Px: ; @_Z17flag_heads_kernelIisN10test_utils4lessELj128ELj4EEvPT_Px
; %bb.0:
	s_load_dwordx4 s[0:3], s[4:5], 0x0
	s_lshl_b32 s4, s6, 9
	s_mov_b32 s5, 0
	s_lshl_b64 s[8:9], s[4:5], 2
	v_lshlrev_b32_e32 v1, 4, v0
	s_waitcnt lgkmcnt(0)
	s_add_u32 s8, s0, s8
	s_addc_u32 s9, s1, s9
	global_load_dwordx4 v[2:5], v1, s[8:9]
	v_lshlrev_b32_e32 v1, 2, v0
	s_bitcmp0_b32 s6, 0
	v_cmp_ne_u32_e32 vcc, 0, v0
	s_cbranch_scc1 .LBB8_4
; %bb.1:
	s_add_i32 s6, s4, -1
	s_mov_b32 s7, s5
	s_lshl_b64 s[6:7], s[6:7], 2
	s_add_u32 s0, s0, s6
	s_addc_u32 s1, s1, s7
	s_load_dword s0, s[0:1], 0x0
	s_waitcnt vmcnt(0)
	ds_write_b32 v1, v5
	s_waitcnt lgkmcnt(0)
	s_barrier
	v_mov_b32_e32 v6, s0
	s_and_saveexec_b64 s[0:1], vcc
	s_cbranch_execz .LBB8_3
; %bb.2:
	v_add_u32_e32 v6, -4, v1
	ds_read_b32 v6, v6
.LBB8_3:
	s_or_b64 exec, exec, s[0:1]
	v_cmp_lt_i32_e32 vcc, v5, v4
	v_cndmask_b32_e64 v8, 0, 1, vcc
	s_waitcnt lgkmcnt(0)
	v_cmp_lt_i32_e32 vcc, v2, v6
	v_cndmask_b32_e64 v6, 0, 1, vcc
	v_cmp_lt_i32_e32 vcc, v4, v3
	v_cndmask_b32_e64 v9, 0, 1, vcc
	;; [unrolled: 2-line block ×3, first 2 shown]
	s_mov_b32 s0, 0x5040100
	v_perm_b32 v7, v7, v6, s0
	v_perm_b32 v6, v8, v9, s0
	s_branch .LBB8_8
.LBB8_4:
                                        ; implicit-def: $vgpr6
                                        ; implicit-def: $vgpr7
	s_cbranch_execz .LBB8_8
; %bb.5:
	s_waitcnt vmcnt(0)
	v_cmp_lt_i32_e32 vcc, v5, v4
	ds_write_b32 v1, v5
	v_cndmask_b32_e64 v5, 0, 1, vcc
	v_cmp_lt_i32_e32 vcc, v4, v3
	v_cndmask_b32_e64 v4, 0, 1, vcc
	v_cmp_lt_i32_e32 vcc, v3, v2
	v_cndmask_b32_e64 v3, 0, 1, vcc
	s_mov_b32 s0, 0x5040100
	v_mov_b32_e32 v6, 0x5040100
	v_perm_b32 v7, v3, 1, v6
	v_perm_b32 v6, v5, v4, s0
	v_cmp_ne_u32_e32 vcc, 0, v0
	s_waitcnt lgkmcnt(0)
	s_barrier
	s_and_saveexec_b64 s[0:1], vcc
	s_cbranch_execz .LBB8_7
; %bb.6:
	v_add_u32_e32 v0, -4, v1
	ds_read_b32 v0, v0
	s_mov_b32 s6, 0xffff
	s_waitcnt lgkmcnt(0)
	v_cmp_lt_i32_e32 vcc, v2, v0
	v_cndmask_b32_e64 v0, 0, 1, vcc
	v_bfi_b32 v7, s6, v0, v7
.LBB8_7:
	s_or_b64 exec, exec, s[0:1]
.LBB8_8:
	s_lshl_b64 s[0:1], s[4:5], 3
	s_waitcnt vmcnt(0)
	v_lshrrev_b32_e32 v2, 16, v7
	s_add_u32 s0, s2, s0
	v_bfe_i32 v0, v7, 0, 16
	v_bfe_i32 v2, v2, 0, 16
	s_addc_u32 s1, s3, s1
	v_lshlrev_b32_e32 v4, 3, v1
	v_ashrrev_i32_e32 v1, 31, v0
	v_ashrrev_i32_e32 v3, 31, v2
	global_store_dwordx4 v4, v[0:3], s[0:1]
	s_nop 0
	v_lshrrev_b32_e32 v2, 16, v6
	v_bfe_i32 v0, v6, 0, 16
	v_bfe_i32 v2, v2, 0, 16
	v_ashrrev_i32_e32 v1, 31, v0
	v_ashrrev_i32_e32 v3, 31, v2
	global_store_dwordx4 v4, v[0:3], s[0:1] offset:16
	s_endpgm
	.section	.rodata,"a",@progbits
	.p2align	6, 0x0
	.amdhsa_kernel _Z17flag_heads_kernelIisN10test_utils4lessELj128ELj4EEvPT_Px
		.amdhsa_group_segment_fixed_size 1024
		.amdhsa_private_segment_fixed_size 0
		.amdhsa_kernarg_size 16
		.amdhsa_user_sgpr_count 6
		.amdhsa_user_sgpr_private_segment_buffer 1
		.amdhsa_user_sgpr_dispatch_ptr 0
		.amdhsa_user_sgpr_queue_ptr 0
		.amdhsa_user_sgpr_kernarg_segment_ptr 1
		.amdhsa_user_sgpr_dispatch_id 0
		.amdhsa_user_sgpr_flat_scratch_init 0
		.amdhsa_user_sgpr_kernarg_preload_length 0
		.amdhsa_user_sgpr_kernarg_preload_offset 0
		.amdhsa_user_sgpr_private_segment_size 0
		.amdhsa_uses_dynamic_stack 0
		.amdhsa_system_sgpr_private_segment_wavefront_offset 0
		.amdhsa_system_sgpr_workgroup_id_x 1
		.amdhsa_system_sgpr_workgroup_id_y 0
		.amdhsa_system_sgpr_workgroup_id_z 0
		.amdhsa_system_sgpr_workgroup_info 0
		.amdhsa_system_vgpr_workitem_id 0
		.amdhsa_next_free_vgpr 10
		.amdhsa_next_free_sgpr 10
		.amdhsa_accum_offset 12
		.amdhsa_reserve_vcc 1
		.amdhsa_reserve_flat_scratch 0
		.amdhsa_float_round_mode_32 0
		.amdhsa_float_round_mode_16_64 0
		.amdhsa_float_denorm_mode_32 3
		.amdhsa_float_denorm_mode_16_64 3
		.amdhsa_dx10_clamp 1
		.amdhsa_ieee_mode 1
		.amdhsa_fp16_overflow 0
		.amdhsa_tg_split 0
		.amdhsa_exception_fp_ieee_invalid_op 0
		.amdhsa_exception_fp_denorm_src 0
		.amdhsa_exception_fp_ieee_div_zero 0
		.amdhsa_exception_fp_ieee_overflow 0
		.amdhsa_exception_fp_ieee_underflow 0
		.amdhsa_exception_fp_ieee_inexact 0
		.amdhsa_exception_int_div_zero 0
	.end_amdhsa_kernel
	.section	.text._Z17flag_heads_kernelIisN10test_utils4lessELj128ELj4EEvPT_Px,"axG",@progbits,_Z17flag_heads_kernelIisN10test_utils4lessELj128ELj4EEvPT_Px,comdat
.Lfunc_end8:
	.size	_Z17flag_heads_kernelIisN10test_utils4lessELj128ELj4EEvPT_Px, .Lfunc_end8-_Z17flag_heads_kernelIisN10test_utils4lessELj128ELj4EEvPT_Px
                                        ; -- End function
	.section	.AMDGPU.csdata,"",@progbits
; Kernel info:
; codeLenInByte = 468
; NumSgprs: 14
; NumVgprs: 10
; NumAgprs: 0
; TotalNumVgprs: 10
; ScratchSize: 0
; MemoryBound: 0
; FloatMode: 240
; IeeeMode: 1
; LDSByteSize: 1024 bytes/workgroup (compile time only)
; SGPRBlocks: 1
; VGPRBlocks: 1
; NumSGPRsForWavesPerEU: 14
; NumVGPRsForWavesPerEU: 10
; AccumOffset: 12
; Occupancy: 8
; WaveLimiterHint : 0
; COMPUTE_PGM_RSRC2:SCRATCH_EN: 0
; COMPUTE_PGM_RSRC2:USER_SGPR: 6
; COMPUTE_PGM_RSRC2:TRAP_HANDLER: 0
; COMPUTE_PGM_RSRC2:TGID_X_EN: 1
; COMPUTE_PGM_RSRC2:TGID_Y_EN: 0
; COMPUTE_PGM_RSRC2:TGID_Z_EN: 0
; COMPUTE_PGM_RSRC2:TIDIG_COMP_CNT: 0
; COMPUTE_PGM_RSRC3_GFX90A:ACCUM_OFFSET: 2
; COMPUTE_PGM_RSRC3_GFX90A:TG_SPLIT: 0
	.section	.text._Z17flag_heads_kernelIic15custom_flag_op2IiELj64ELj2EEvPT_Px,"axG",@progbits,_Z17flag_heads_kernelIic15custom_flag_op2IiELj64ELj2EEvPT_Px,comdat
	.protected	_Z17flag_heads_kernelIic15custom_flag_op2IiELj64ELj2EEvPT_Px ; -- Begin function _Z17flag_heads_kernelIic15custom_flag_op2IiELj64ELj2EEvPT_Px
	.globl	_Z17flag_heads_kernelIic15custom_flag_op2IiELj64ELj2EEvPT_Px
	.p2align	8
	.type	_Z17flag_heads_kernelIic15custom_flag_op2IiELj64ELj2EEvPT_Px,@function
_Z17flag_heads_kernelIic15custom_flag_op2IiELj64ELj2EEvPT_Px: ; @_Z17flag_heads_kernelIic15custom_flag_op2IiELj64ELj2EEvPT_Px
; %bb.0:
	s_load_dwordx4 s[0:3], s[4:5], 0x0
	s_lshl_b32 s4, s6, 7
	s_mov_b32 s5, 0
	s_lshl_b64 s[8:9], s[4:5], 2
	v_lshlrev_b32_e32 v1, 3, v0
	s_waitcnt lgkmcnt(0)
	s_add_u32 s8, s0, s8
	s_addc_u32 s9, s1, s9
	global_load_dwordx2 v[2:3], v1, s[8:9]
	v_lshlrev_b32_e32 v1, 1, v0
	s_bitcmp0_b32 s6, 0
	v_lshlrev_b32_e32 v4, 2, v0
	v_cmp_ne_u32_e32 vcc, 0, v0
	s_cbranch_scc1 .LBB9_4
; %bb.1:
	s_add_i32 s6, s4, -1
	s_mov_b32 s7, s5
	s_lshl_b64 s[6:7], s[6:7], 2
	s_add_u32 s0, s0, s6
	s_addc_u32 s1, s1, s7
	s_load_dword s0, s[0:1], 0x0
	s_waitcnt vmcnt(0)
	ds_write_b32 v4, v3
	s_waitcnt lgkmcnt(0)
	; wave barrier
	s_waitcnt lgkmcnt(0)
	v_mov_b32_e32 v5, s0
	s_and_saveexec_b64 s[0:1], vcc
	s_cbranch_execz .LBB9_3
; %bb.2:
	v_add_u32_e32 v5, -4, v4
	ds_read_b32 v5, v5
.LBB9_3:
	s_or_b64 exec, exec, s[0:1]
	v_sub_u32_e32 v6, v3, v2
	v_cmp_lt_i32_e32 vcc, 5, v6
	s_waitcnt lgkmcnt(0)
	v_sub_u32_e32 v5, v2, v5
	v_cndmask_b32_e64 v6, 0, 1, vcc
	v_cmp_lt_i32_e32 vcc, 5, v5
	v_cndmask_b32_e64 v5, 0, 1, vcc
	v_lshlrev_b16_e32 v6, 8, v6
	v_or_b32_e32 v5, v5, v6
	v_and_b32_e32 v5, 0xffff, v5
	s_branch .LBB9_8
.LBB9_4:
                                        ; implicit-def: $vgpr5
	s_cbranch_execz .LBB9_8
; %bb.5:
	s_waitcnt vmcnt(0)
	ds_write_b32 v4, v3
	v_sub_u32_e32 v3, v3, v2
	v_cmp_lt_i32_e32 vcc, 5, v3
	v_cndmask_b32_e64 v3, 0, 1, vcc
	v_lshlrev_b16_e32 v3, 8, v3
	v_or_b32_e32 v3, 1, v3
	v_and_b32_e32 v5, 0xffff, v3
	v_cmp_ne_u32_e32 vcc, 0, v0
	s_waitcnt lgkmcnt(0)
	; wave barrier
	s_waitcnt lgkmcnt(0)
	s_and_saveexec_b64 s[0:1], vcc
	s_cbranch_execz .LBB9_7
; %bb.6:
	v_add_u32_e32 v0, -4, v4
	ds_read_b32 v0, v0
	v_and_b32_e32 v3, 0x100, v5
	s_waitcnt lgkmcnt(0)
	v_sub_u32_e32 v0, v2, v0
	v_cmp_lt_i32_e32 vcc, 5, v0
	v_cndmask_b32_e64 v0, 0, 1, vcc
	v_or_b32_e32 v0, v0, v3
	v_and_b32_e32 v5, 0xffff, v0
.LBB9_7:
	s_or_b64 exec, exec, s[0:1]
.LBB9_8:
	s_lshl_b64 s[0:1], s[4:5], 3
	s_waitcnt vmcnt(0)
	v_lshrrev_b16_e32 v2, 8, v5
	s_add_u32 s0, s2, s0
	v_bfe_i32 v0, v5, 0, 8
	v_bfe_i32 v2, v2, 0, 8
	s_addc_u32 s1, s3, s1
	v_lshlrev_b32_e32 v4, 3, v1
	v_ashrrev_i32_e32 v1, 31, v0
	v_ashrrev_i32_e32 v3, 31, v2
	global_store_dwordx4 v4, v[0:3], s[0:1]
	s_endpgm
	.section	.rodata,"a",@progbits
	.p2align	6, 0x0
	.amdhsa_kernel _Z17flag_heads_kernelIic15custom_flag_op2IiELj64ELj2EEvPT_Px
		.amdhsa_group_segment_fixed_size 512
		.amdhsa_private_segment_fixed_size 0
		.amdhsa_kernarg_size 16
		.amdhsa_user_sgpr_count 6
		.amdhsa_user_sgpr_private_segment_buffer 1
		.amdhsa_user_sgpr_dispatch_ptr 0
		.amdhsa_user_sgpr_queue_ptr 0
		.amdhsa_user_sgpr_kernarg_segment_ptr 1
		.amdhsa_user_sgpr_dispatch_id 0
		.amdhsa_user_sgpr_flat_scratch_init 0
		.amdhsa_user_sgpr_kernarg_preload_length 0
		.amdhsa_user_sgpr_kernarg_preload_offset 0
		.amdhsa_user_sgpr_private_segment_size 0
		.amdhsa_uses_dynamic_stack 0
		.amdhsa_system_sgpr_private_segment_wavefront_offset 0
		.amdhsa_system_sgpr_workgroup_id_x 1
		.amdhsa_system_sgpr_workgroup_id_y 0
		.amdhsa_system_sgpr_workgroup_id_z 0
		.amdhsa_system_sgpr_workgroup_info 0
		.amdhsa_system_vgpr_workitem_id 0
		.amdhsa_next_free_vgpr 7
		.amdhsa_next_free_sgpr 10
		.amdhsa_accum_offset 8
		.amdhsa_reserve_vcc 1
		.amdhsa_reserve_flat_scratch 0
		.amdhsa_float_round_mode_32 0
		.amdhsa_float_round_mode_16_64 0
		.amdhsa_float_denorm_mode_32 3
		.amdhsa_float_denorm_mode_16_64 3
		.amdhsa_dx10_clamp 1
		.amdhsa_ieee_mode 1
		.amdhsa_fp16_overflow 0
		.amdhsa_tg_split 0
		.amdhsa_exception_fp_ieee_invalid_op 0
		.amdhsa_exception_fp_denorm_src 0
		.amdhsa_exception_fp_ieee_div_zero 0
		.amdhsa_exception_fp_ieee_overflow 0
		.amdhsa_exception_fp_ieee_underflow 0
		.amdhsa_exception_fp_ieee_inexact 0
		.amdhsa_exception_int_div_zero 0
	.end_amdhsa_kernel
	.section	.text._Z17flag_heads_kernelIic15custom_flag_op2IiELj64ELj2EEvPT_Px,"axG",@progbits,_Z17flag_heads_kernelIic15custom_flag_op2IiELj64ELj2EEvPT_Px,comdat
.Lfunc_end9:
	.size	_Z17flag_heads_kernelIic15custom_flag_op2IiELj64ELj2EEvPT_Px, .Lfunc_end9-_Z17flag_heads_kernelIic15custom_flag_op2IiELj64ELj2EEvPT_Px
                                        ; -- End function
	.section	.AMDGPU.csdata,"",@progbits
; Kernel info:
; codeLenInByte = 380
; NumSgprs: 14
; NumVgprs: 7
; NumAgprs: 0
; TotalNumVgprs: 7
; ScratchSize: 0
; MemoryBound: 0
; FloatMode: 240
; IeeeMode: 1
; LDSByteSize: 512 bytes/workgroup (compile time only)
; SGPRBlocks: 1
; VGPRBlocks: 0
; NumSGPRsForWavesPerEU: 14
; NumVGPRsForWavesPerEU: 7
; AccumOffset: 8
; Occupancy: 8
; WaveLimiterHint : 0
; COMPUTE_PGM_RSRC2:SCRATCH_EN: 0
; COMPUTE_PGM_RSRC2:USER_SGPR: 6
; COMPUTE_PGM_RSRC2:TRAP_HANDLER: 0
; COMPUTE_PGM_RSRC2:TGID_X_EN: 1
; COMPUTE_PGM_RSRC2:TGID_Y_EN: 0
; COMPUTE_PGM_RSRC2:TGID_Z_EN: 0
; COMPUTE_PGM_RSRC2:TIDIG_COMP_CNT: 0
; COMPUTE_PGM_RSRC3_GFX90A:ACCUM_OFFSET: 1
; COMPUTE_PGM_RSRC3_GFX90A:TG_SPLIT: 0
	.section	.text._Z17flag_heads_kernelIhbN6hipcub8EqualityELj255ELj1EEvPT_Px,"axG",@progbits,_Z17flag_heads_kernelIhbN6hipcub8EqualityELj255ELj1EEvPT_Px,comdat
	.protected	_Z17flag_heads_kernelIhbN6hipcub8EqualityELj255ELj1EEvPT_Px ; -- Begin function _Z17flag_heads_kernelIhbN6hipcub8EqualityELj255ELj1EEvPT_Px
	.globl	_Z17flag_heads_kernelIhbN6hipcub8EqualityELj255ELj1EEvPT_Px
	.p2align	8
	.type	_Z17flag_heads_kernelIhbN6hipcub8EqualityELj255ELj1EEvPT_Px,@function
_Z17flag_heads_kernelIhbN6hipcub8EqualityELj255ELj1EEvPT_Px: ; @_Z17flag_heads_kernelIhbN6hipcub8EqualityELj255ELj1EEvPT_Px
; %bb.0:
	s_load_dwordx4 s[0:3], s[4:5], 0x0
	s_mul_i32 s4, s6, 0xff
	s_mov_b32 s5, 0
	v_cmp_ne_u32_e32 vcc, 0, v0
	s_waitcnt lgkmcnt(0)
	s_add_u32 s8, s0, s4
	s_addc_u32 s9, s1, 0
	global_load_ubyte v1, v0, s[8:9]
	s_bitcmp0_b32 s6, 0
	s_cbranch_scc1 .LBB10_4
; %bb.1:
	s_add_i32 s6, s4, -1
	v_mov_b32_e32 v2, s6
	global_load_ubyte v2, v2, s[0:1]
	s_waitcnt vmcnt(1)
	ds_write_b8 v0, v1
	s_waitcnt lgkmcnt(0)
	s_barrier
	s_and_saveexec_b64 s[0:1], vcc
	s_cbranch_execz .LBB10_3
; %bb.2:
	s_waitcnt vmcnt(0)
	v_add_u32_e32 v2, -1, v0
	ds_read_u8 v2, v2
.LBB10_3:
	s_or_b64 exec, exec, s[0:1]
	s_waitcnt vmcnt(0) lgkmcnt(0)
	v_cmp_eq_u16_sdwa s[0:1], v1, v2 src0_sel:BYTE_0 src1_sel:BYTE_0
	s_branch .LBB10_8
.LBB10_4:
                                        ; implicit-def: $sgpr0_sgpr1
	s_cbranch_execz .LBB10_8
; %bb.5:
	v_cmp_ne_u32_e32 vcc, 0, v0
	s_mov_b64 s[0:1], -1
	s_waitcnt vmcnt(0)
	ds_write_b8 v0, v1
	s_waitcnt lgkmcnt(0)
	s_barrier
	s_and_saveexec_b64 s[6:7], vcc
	s_cbranch_execz .LBB10_7
; %bb.6:
	v_add_u32_e32 v2, -1, v0
	ds_read_u8 v2, v2
	s_waitcnt lgkmcnt(0)
	v_cmp_eq_u16_sdwa s[0:1], v1, v2 src0_sel:BYTE_0 src1_sel:DWORD
	s_orn2_b64 s[0:1], s[0:1], exec
.LBB10_7:
	s_or_b64 exec, exec, s[6:7]
.LBB10_8:
	s_lshl_b64 s[4:5], s[4:5], 3
	s_add_u32 s2, s2, s4
	v_lshlrev_b32_e32 v2, 3, v0
	v_cndmask_b32_e64 v0, 0, 1, s[0:1]
	s_mov_b32 s0, 0
	s_addc_u32 s3, s3, s5
	s_waitcnt vmcnt(0)
	v_mov_b32_e32 v1, s0
	global_store_dwordx2 v2, v[0:1], s[2:3]
	s_endpgm
	.section	.rodata,"a",@progbits
	.p2align	6, 0x0
	.amdhsa_kernel _Z17flag_heads_kernelIhbN6hipcub8EqualityELj255ELj1EEvPT_Px
		.amdhsa_group_segment_fixed_size 510
		.amdhsa_private_segment_fixed_size 0
		.amdhsa_kernarg_size 16
		.amdhsa_user_sgpr_count 6
		.amdhsa_user_sgpr_private_segment_buffer 1
		.amdhsa_user_sgpr_dispatch_ptr 0
		.amdhsa_user_sgpr_queue_ptr 0
		.amdhsa_user_sgpr_kernarg_segment_ptr 1
		.amdhsa_user_sgpr_dispatch_id 0
		.amdhsa_user_sgpr_flat_scratch_init 0
		.amdhsa_user_sgpr_kernarg_preload_length 0
		.amdhsa_user_sgpr_kernarg_preload_offset 0
		.amdhsa_user_sgpr_private_segment_size 0
		.amdhsa_uses_dynamic_stack 0
		.amdhsa_system_sgpr_private_segment_wavefront_offset 0
		.amdhsa_system_sgpr_workgroup_id_x 1
		.amdhsa_system_sgpr_workgroup_id_y 0
		.amdhsa_system_sgpr_workgroup_id_z 0
		.amdhsa_system_sgpr_workgroup_info 0
		.amdhsa_system_vgpr_workitem_id 0
		.amdhsa_next_free_vgpr 3
		.amdhsa_next_free_sgpr 10
		.amdhsa_accum_offset 4
		.amdhsa_reserve_vcc 1
		.amdhsa_reserve_flat_scratch 0
		.amdhsa_float_round_mode_32 0
		.amdhsa_float_round_mode_16_64 0
		.amdhsa_float_denorm_mode_32 3
		.amdhsa_float_denorm_mode_16_64 3
		.amdhsa_dx10_clamp 1
		.amdhsa_ieee_mode 1
		.amdhsa_fp16_overflow 0
		.amdhsa_tg_split 0
		.amdhsa_exception_fp_ieee_invalid_op 0
		.amdhsa_exception_fp_denorm_src 0
		.amdhsa_exception_fp_ieee_div_zero 0
		.amdhsa_exception_fp_ieee_overflow 0
		.amdhsa_exception_fp_ieee_underflow 0
		.amdhsa_exception_fp_ieee_inexact 0
		.amdhsa_exception_int_div_zero 0
	.end_amdhsa_kernel
	.section	.text._Z17flag_heads_kernelIhbN6hipcub8EqualityELj255ELj1EEvPT_Px,"axG",@progbits,_Z17flag_heads_kernelIhbN6hipcub8EqualityELj255ELj1EEvPT_Px,comdat
.Lfunc_end10:
	.size	_Z17flag_heads_kernelIhbN6hipcub8EqualityELj255ELj1EEvPT_Px, .Lfunc_end10-_Z17flag_heads_kernelIhbN6hipcub8EqualityELj255ELj1EEvPT_Px
                                        ; -- End function
	.section	.AMDGPU.csdata,"",@progbits
; Kernel info:
; codeLenInByte = 252
; NumSgprs: 14
; NumVgprs: 3
; NumAgprs: 0
; TotalNumVgprs: 3
; ScratchSize: 0
; MemoryBound: 0
; FloatMode: 240
; IeeeMode: 1
; LDSByteSize: 510 bytes/workgroup (compile time only)
; SGPRBlocks: 1
; VGPRBlocks: 0
; NumSGPRsForWavesPerEU: 14
; NumVGPRsForWavesPerEU: 3
; AccumOffset: 4
; Occupancy: 8
; WaveLimiterHint : 0
; COMPUTE_PGM_RSRC2:SCRATCH_EN: 0
; COMPUTE_PGM_RSRC2:USER_SGPR: 6
; COMPUTE_PGM_RSRC2:TRAP_HANDLER: 0
; COMPUTE_PGM_RSRC2:TGID_X_EN: 1
; COMPUTE_PGM_RSRC2:TGID_Y_EN: 0
; COMPUTE_PGM_RSRC2:TGID_Z_EN: 0
; COMPUTE_PGM_RSRC2:TIDIG_COMP_CNT: 0
; COMPUTE_PGM_RSRC3_GFX90A:ACCUM_OFFSET: 0
; COMPUTE_PGM_RSRC3_GFX90A:TG_SPLIT: 0
	.section	.text._Z17flag_heads_kernelIjxN6hipcub10InequalityELj162ELj1EEvPT_Px,"axG",@progbits,_Z17flag_heads_kernelIjxN6hipcub10InequalityELj162ELj1EEvPT_Px,comdat
	.protected	_Z17flag_heads_kernelIjxN6hipcub10InequalityELj162ELj1EEvPT_Px ; -- Begin function _Z17flag_heads_kernelIjxN6hipcub10InequalityELj162ELj1EEvPT_Px
	.globl	_Z17flag_heads_kernelIjxN6hipcub10InequalityELj162ELj1EEvPT_Px
	.p2align	8
	.type	_Z17flag_heads_kernelIjxN6hipcub10InequalityELj162ELj1EEvPT_Px,@function
_Z17flag_heads_kernelIjxN6hipcub10InequalityELj162ELj1EEvPT_Px: ; @_Z17flag_heads_kernelIjxN6hipcub10InequalityELj162ELj1EEvPT_Px
; %bb.0:
	s_load_dwordx4 s[0:3], s[4:5], 0x0
	s_mul_i32 s4, s6, 0xa2
	s_mov_b32 s5, 0
	s_lshl_b64 s[8:9], s[4:5], 2
	v_lshlrev_b32_e32 v2, 2, v0
	s_waitcnt lgkmcnt(0)
	s_add_u32 s8, s0, s8
	s_addc_u32 s9, s1, s9
	global_load_dword v1, v2, s[8:9]
	s_bitcmp0_b32 s6, 0
	v_cmp_ne_u32_e32 vcc, 0, v0
	s_cbranch_scc1 .LBB11_4
; %bb.1:
	s_add_i32 s6, s4, -1
	s_mov_b32 s7, s5
	s_lshl_b64 s[6:7], s[6:7], 2
	s_add_u32 s0, s0, s6
	s_addc_u32 s1, s1, s7
	s_load_dword s0, s[0:1], 0x0
	s_waitcnt vmcnt(0)
	ds_write_b32 v2, v1
	s_waitcnt lgkmcnt(0)
	s_barrier
	v_mov_b32_e32 v3, s0
	s_and_saveexec_b64 s[0:1], vcc
	s_cbranch_execz .LBB11_3
; %bb.2:
	v_add_u32_e32 v3, -4, v2
	ds_read_b32 v3, v3
.LBB11_3:
	s_or_b64 exec, exec, s[0:1]
	s_waitcnt lgkmcnt(0)
	v_cmp_ne_u32_e64 s[0:1], v1, v3
	s_branch .LBB11_8
.LBB11_4:
                                        ; implicit-def: $sgpr0_sgpr1
	s_cbranch_execz .LBB11_8
; %bb.5:
	v_cmp_ne_u32_e32 vcc, 0, v0
	s_mov_b64 s[0:1], -1
	s_waitcnt vmcnt(0)
	ds_write_b32 v2, v1
	s_waitcnt lgkmcnt(0)
	s_barrier
	s_and_saveexec_b64 s[6:7], vcc
	s_cbranch_execz .LBB11_7
; %bb.6:
	v_add_u32_e32 v2, -4, v2
	ds_read_b32 v2, v2
	s_waitcnt lgkmcnt(0)
	v_cmp_ne_u32_e32 vcc, v1, v2
	s_orn2_b64 s[0:1], vcc, exec
.LBB11_7:
	s_or_b64 exec, exec, s[6:7]
.LBB11_8:
	v_cndmask_b32_e64 v2, 0, 1, s[0:1]
	s_mov_b32 s0, 0
	v_mov_b32_e32 v3, s0
	s_lshl_b64 s[0:1], s[4:5], 3
	s_add_u32 s0, s2, s0
	s_addc_u32 s1, s3, s1
	v_lshlrev_b32_e32 v0, 3, v0
	global_store_dwordx2 v0, v[2:3], s[0:1]
	s_endpgm
	.section	.rodata,"a",@progbits
	.p2align	6, 0x0
	.amdhsa_kernel _Z17flag_heads_kernelIjxN6hipcub10InequalityELj162ELj1EEvPT_Px
		.amdhsa_group_segment_fixed_size 1296
		.amdhsa_private_segment_fixed_size 0
		.amdhsa_kernarg_size 16
		.amdhsa_user_sgpr_count 6
		.amdhsa_user_sgpr_private_segment_buffer 1
		.amdhsa_user_sgpr_dispatch_ptr 0
		.amdhsa_user_sgpr_queue_ptr 0
		.amdhsa_user_sgpr_kernarg_segment_ptr 1
		.amdhsa_user_sgpr_dispatch_id 0
		.amdhsa_user_sgpr_flat_scratch_init 0
		.amdhsa_user_sgpr_kernarg_preload_length 0
		.amdhsa_user_sgpr_kernarg_preload_offset 0
		.amdhsa_user_sgpr_private_segment_size 0
		.amdhsa_uses_dynamic_stack 0
		.amdhsa_system_sgpr_private_segment_wavefront_offset 0
		.amdhsa_system_sgpr_workgroup_id_x 1
		.amdhsa_system_sgpr_workgroup_id_y 0
		.amdhsa_system_sgpr_workgroup_id_z 0
		.amdhsa_system_sgpr_workgroup_info 0
		.amdhsa_system_vgpr_workitem_id 0
		.amdhsa_next_free_vgpr 4
		.amdhsa_next_free_sgpr 10
		.amdhsa_accum_offset 4
		.amdhsa_reserve_vcc 1
		.amdhsa_reserve_flat_scratch 0
		.amdhsa_float_round_mode_32 0
		.amdhsa_float_round_mode_16_64 0
		.amdhsa_float_denorm_mode_32 3
		.amdhsa_float_denorm_mode_16_64 3
		.amdhsa_dx10_clamp 1
		.amdhsa_ieee_mode 1
		.amdhsa_fp16_overflow 0
		.amdhsa_tg_split 0
		.amdhsa_exception_fp_ieee_invalid_op 0
		.amdhsa_exception_fp_denorm_src 0
		.amdhsa_exception_fp_ieee_div_zero 0
		.amdhsa_exception_fp_ieee_overflow 0
		.amdhsa_exception_fp_ieee_underflow 0
		.amdhsa_exception_fp_ieee_inexact 0
		.amdhsa_exception_int_div_zero 0
	.end_amdhsa_kernel
	.section	.text._Z17flag_heads_kernelIjxN6hipcub10InequalityELj162ELj1EEvPT_Px,"axG",@progbits,_Z17flag_heads_kernelIjxN6hipcub10InequalityELj162ELj1EEvPT_Px,comdat
.Lfunc_end11:
	.size	_Z17flag_heads_kernelIjxN6hipcub10InequalityELj162ELj1EEvPT_Px, .Lfunc_end11-_Z17flag_heads_kernelIjxN6hipcub10InequalityELj162ELj1EEvPT_Px
                                        ; -- End function
	.section	.AMDGPU.csdata,"",@progbits
; Kernel info:
; codeLenInByte = 264
; NumSgprs: 14
; NumVgprs: 4
; NumAgprs: 0
; TotalNumVgprs: 4
; ScratchSize: 0
; MemoryBound: 0
; FloatMode: 240
; IeeeMode: 1
; LDSByteSize: 1296 bytes/workgroup (compile time only)
; SGPRBlocks: 1
; VGPRBlocks: 0
; NumSGPRsForWavesPerEU: 14
; NumVGPRsForWavesPerEU: 4
; AccumOffset: 4
; Occupancy: 8
; WaveLimiterHint : 0
; COMPUTE_PGM_RSRC2:SCRATCH_EN: 0
; COMPUTE_PGM_RSRC2:USER_SGPR: 6
; COMPUTE_PGM_RSRC2:TRAP_HANDLER: 0
; COMPUTE_PGM_RSRC2:TGID_X_EN: 1
; COMPUTE_PGM_RSRC2:TGID_Y_EN: 0
; COMPUTE_PGM_RSRC2:TGID_Z_EN: 0
; COMPUTE_PGM_RSRC2:TIDIG_COMP_CNT: 0
; COMPUTE_PGM_RSRC3_GFX90A:ACCUM_OFFSET: 0
; COMPUTE_PGM_RSRC3_GFX90A:TG_SPLIT: 0
	.section	.text._Z17flag_heads_kernelIxcN10test_utils13greater_equalELj510ELj1EEvPT_Px,"axG",@progbits,_Z17flag_heads_kernelIxcN10test_utils13greater_equalELj510ELj1EEvPT_Px,comdat
	.protected	_Z17flag_heads_kernelIxcN10test_utils13greater_equalELj510ELj1EEvPT_Px ; -- Begin function _Z17flag_heads_kernelIxcN10test_utils13greater_equalELj510ELj1EEvPT_Px
	.globl	_Z17flag_heads_kernelIxcN10test_utils13greater_equalELj510ELj1EEvPT_Px
	.p2align	8
	.type	_Z17flag_heads_kernelIxcN10test_utils13greater_equalELj510ELj1EEvPT_Px,@function
_Z17flag_heads_kernelIxcN10test_utils13greater_equalELj510ELj1EEvPT_Px: ; @_Z17flag_heads_kernelIxcN10test_utils13greater_equalELj510ELj1EEvPT_Px
; %bb.0:
	s_load_dwordx4 s[0:3], s[4:5], 0x0
	s_mul_i32 s8, s6, 0x1fe
	s_mov_b32 s9, 0
	s_lshl_b64 s[4:5], s[8:9], 3
	v_lshlrev_b32_e32 v1, 3, v0
	s_waitcnt lgkmcnt(0)
	s_add_u32 s10, s0, s4
	s_addc_u32 s11, s1, s5
	global_load_dwordx2 v[2:3], v1, s[10:11]
	s_bitcmp0_b32 s6, 0
	v_cmp_ne_u32_e32 vcc, 0, v0
	s_cbranch_scc1 .LBB12_4
; %bb.1:
	s_add_i32 s8, s8, -1
	s_lshl_b64 s[6:7], s[8:9], 3
	s_add_u32 s0, s0, s6
	s_addc_u32 s1, s1, s7
	s_load_dwordx2 s[0:1], s[0:1], 0x0
	s_waitcnt vmcnt(0)
	ds_write_b64 v1, v[2:3]
	s_waitcnt lgkmcnt(0)
	s_barrier
	v_pk_mov_b32 v[4:5], s[0:1], s[0:1] op_sel:[0,1]
	s_and_saveexec_b64 s[0:1], vcc
	s_cbranch_execz .LBB12_3
; %bb.2:
	v_add_u32_e32 v4, -8, v1
	ds_read_b64 v[4:5], v4
.LBB12_3:
	s_or_b64 exec, exec, s[0:1]
	s_waitcnt lgkmcnt(0)
	v_cmp_ge_i64_e64 s[0:1], v[2:3], v[4:5]
	s_branch .LBB12_8
.LBB12_4:
                                        ; implicit-def: $sgpr0_sgpr1
	s_cbranch_execz .LBB12_8
; %bb.5:
	v_cmp_ne_u32_e32 vcc, 0, v0
	s_mov_b64 s[0:1], -1
	s_waitcnt vmcnt(0)
	ds_write_b64 v1, v[2:3]
	s_waitcnt lgkmcnt(0)
	s_barrier
	s_and_saveexec_b64 s[6:7], vcc
	s_cbranch_execz .LBB12_7
; %bb.6:
	v_add_u32_e32 v0, -8, v1
	ds_read_b64 v[4:5], v0
	s_waitcnt lgkmcnt(0)
	v_cmp_ge_i64_e32 vcc, v[2:3], v[4:5]
	s_orn2_b64 s[0:1], vcc, exec
.LBB12_7:
	s_or_b64 exec, exec, s[6:7]
.LBB12_8:
	s_add_u32 s2, s2, s4
	s_waitcnt vmcnt(0)
	v_cndmask_b32_e64 v2, 0, 1, s[0:1]
	s_mov_b32 s0, 0
	s_addc_u32 s3, s3, s5
	v_mov_b32_e32 v3, s0
	global_store_dwordx2 v1, v[2:3], s[2:3]
	s_endpgm
	.section	.rodata,"a",@progbits
	.p2align	6, 0x0
	.amdhsa_kernel _Z17flag_heads_kernelIxcN10test_utils13greater_equalELj510ELj1EEvPT_Px
		.amdhsa_group_segment_fixed_size 8160
		.amdhsa_private_segment_fixed_size 0
		.amdhsa_kernarg_size 16
		.amdhsa_user_sgpr_count 6
		.amdhsa_user_sgpr_private_segment_buffer 1
		.amdhsa_user_sgpr_dispatch_ptr 0
		.amdhsa_user_sgpr_queue_ptr 0
		.amdhsa_user_sgpr_kernarg_segment_ptr 1
		.amdhsa_user_sgpr_dispatch_id 0
		.amdhsa_user_sgpr_flat_scratch_init 0
		.amdhsa_user_sgpr_kernarg_preload_length 0
		.amdhsa_user_sgpr_kernarg_preload_offset 0
		.amdhsa_user_sgpr_private_segment_size 0
		.amdhsa_uses_dynamic_stack 0
		.amdhsa_system_sgpr_private_segment_wavefront_offset 0
		.amdhsa_system_sgpr_workgroup_id_x 1
		.amdhsa_system_sgpr_workgroup_id_y 0
		.amdhsa_system_sgpr_workgroup_id_z 0
		.amdhsa_system_sgpr_workgroup_info 0
		.amdhsa_system_vgpr_workitem_id 0
		.amdhsa_next_free_vgpr 6
		.amdhsa_next_free_sgpr 12
		.amdhsa_accum_offset 8
		.amdhsa_reserve_vcc 1
		.amdhsa_reserve_flat_scratch 0
		.amdhsa_float_round_mode_32 0
		.amdhsa_float_round_mode_16_64 0
		.amdhsa_float_denorm_mode_32 3
		.amdhsa_float_denorm_mode_16_64 3
		.amdhsa_dx10_clamp 1
		.amdhsa_ieee_mode 1
		.amdhsa_fp16_overflow 0
		.amdhsa_tg_split 0
		.amdhsa_exception_fp_ieee_invalid_op 0
		.amdhsa_exception_fp_denorm_src 0
		.amdhsa_exception_fp_ieee_div_zero 0
		.amdhsa_exception_fp_ieee_overflow 0
		.amdhsa_exception_fp_ieee_underflow 0
		.amdhsa_exception_fp_ieee_inexact 0
		.amdhsa_exception_int_div_zero 0
	.end_amdhsa_kernel
	.section	.text._Z17flag_heads_kernelIxcN10test_utils13greater_equalELj510ELj1EEvPT_Px,"axG",@progbits,_Z17flag_heads_kernelIxcN10test_utils13greater_equalELj510ELj1EEvPT_Px,comdat
.Lfunc_end12:
	.size	_Z17flag_heads_kernelIxcN10test_utils13greater_equalELj510ELj1EEvPT_Px, .Lfunc_end12-_Z17flag_heads_kernelIxcN10test_utils13greater_equalELj510ELj1EEvPT_Px
                                        ; -- End function
	.section	.AMDGPU.csdata,"",@progbits
; Kernel info:
; codeLenInByte = 260
; NumSgprs: 16
; NumVgprs: 6
; NumAgprs: 0
; TotalNumVgprs: 6
; ScratchSize: 0
; MemoryBound: 0
; FloatMode: 240
; IeeeMode: 1
; LDSByteSize: 8160 bytes/workgroup (compile time only)
; SGPRBlocks: 1
; VGPRBlocks: 0
; NumSGPRsForWavesPerEU: 16
; NumVGPRsForWavesPerEU: 6
; AccumOffset: 8
; Occupancy: 8
; WaveLimiterHint : 0
; COMPUTE_PGM_RSRC2:SCRATCH_EN: 0
; COMPUTE_PGM_RSRC2:USER_SGPR: 6
; COMPUTE_PGM_RSRC2:TRAP_HANDLER: 0
; COMPUTE_PGM_RSRC2:TGID_X_EN: 1
; COMPUTE_PGM_RSRC2:TGID_Y_EN: 0
; COMPUTE_PGM_RSRC2:TGID_Z_EN: 0
; COMPUTE_PGM_RSRC2:TIDIG_COMP_CNT: 0
; COMPUTE_PGM_RSRC3_GFX90A:ACCUM_OFFSET: 1
; COMPUTE_PGM_RSRC3_GFX90A:TG_SPLIT: 0
	.section	.text._Z17flag_heads_kernelI12hip_bfloat16iN10test_utils7greaterELj37ELj1EEvPT_Px,"axG",@progbits,_Z17flag_heads_kernelI12hip_bfloat16iN10test_utils7greaterELj37ELj1EEvPT_Px,comdat
	.protected	_Z17flag_heads_kernelI12hip_bfloat16iN10test_utils7greaterELj37ELj1EEvPT_Px ; -- Begin function _Z17flag_heads_kernelI12hip_bfloat16iN10test_utils7greaterELj37ELj1EEvPT_Px
	.globl	_Z17flag_heads_kernelI12hip_bfloat16iN10test_utils7greaterELj37ELj1EEvPT_Px
	.p2align	8
	.type	_Z17flag_heads_kernelI12hip_bfloat16iN10test_utils7greaterELj37ELj1EEvPT_Px,@function
_Z17flag_heads_kernelI12hip_bfloat16iN10test_utils7greaterELj37ELj1EEvPT_Px: ; @_Z17flag_heads_kernelI12hip_bfloat16iN10test_utils7greaterELj37ELj1EEvPT_Px
; %bb.0:
	s_load_dwordx4 s[0:3], s[4:5], 0x0
	s_mul_i32 s4, s6, 37
	s_mov_b32 s5, 0
	s_lshl_b64 s[8:9], s[4:5], 1
	v_lshlrev_b32_e32 v2, 1, v0
	s_waitcnt lgkmcnt(0)
	s_add_u32 s8, s0, s8
	s_addc_u32 s9, s1, s9
	global_load_ushort v1, v2, s[8:9]
	s_bitcmp0_b32 s6, 0
	v_cmp_ne_u32_e32 vcc, 0, v0
	s_cbranch_scc1 .LBB13_4
; %bb.1:
	s_add_i32 s6, s4, -1
	s_mov_b32 s7, s5
	s_lshl_b64 s[6:7], s[6:7], 1
	s_add_u32 s0, s0, s6
	s_addc_u32 s1, s1, s7
	v_mov_b32_e32 v3, 0
	global_load_ushort v3, v3, s[0:1]
	s_waitcnt vmcnt(1)
	ds_write_b16 v2, v1
	s_waitcnt lgkmcnt(0)
	; wave barrier
	s_waitcnt lgkmcnt(0)
	s_and_saveexec_b64 s[0:1], vcc
	s_cbranch_execz .LBB13_3
; %bb.2:
	s_waitcnt vmcnt(0)
	v_add_u32_e32 v3, -2, v2
	ds_read_u16 v3, v3
.LBB13_3:
	s_or_b64 exec, exec, s[0:1]
	v_lshlrev_b32_e32 v4, 16, v1
	s_waitcnt vmcnt(0) lgkmcnt(0)
	v_lshlrev_b32_e32 v3, 16, v3
	v_cmp_lt_f32_e64 s[0:1], v3, v4
	s_branch .LBB13_8
.LBB13_4:
                                        ; implicit-def: $sgpr0_sgpr1
	s_cbranch_execz .LBB13_8
; %bb.5:
	v_cmp_ne_u32_e32 vcc, 0, v0
	s_mov_b64 s[0:1], -1
	s_waitcnt vmcnt(0)
	ds_write_b16 v2, v1
	s_waitcnt lgkmcnt(0)
	; wave barrier
	s_waitcnt lgkmcnt(0)
	s_and_saveexec_b64 s[6:7], vcc
	s_cbranch_execz .LBB13_7
; %bb.6:
	v_add_u32_e32 v2, -2, v2
	ds_read_u16 v2, v2
	v_lshlrev_b32_e32 v1, 16, v1
	s_waitcnt lgkmcnt(0)
	v_lshlrev_b32_e32 v2, 16, v2
	v_cmp_lt_f32_e32 vcc, v2, v1
	s_orn2_b64 s[0:1], vcc, exec
.LBB13_7:
	s_or_b64 exec, exec, s[6:7]
.LBB13_8:
	s_lshl_b64 s[4:5], s[4:5], 3
	s_add_u32 s2, s2, s4
	v_lshlrev_b32_e32 v2, 3, v0
	v_cndmask_b32_e64 v0, 0, 1, s[0:1]
	s_mov_b32 s0, 0
	s_addc_u32 s3, s3, s5
	s_waitcnt vmcnt(0)
	v_mov_b32_e32 v1, s0
	global_store_dwordx2 v2, v[0:1], s[2:3]
	s_endpgm
	.section	.rodata,"a",@progbits
	.p2align	6, 0x0
	.amdhsa_kernel _Z17flag_heads_kernelI12hip_bfloat16iN10test_utils7greaterELj37ELj1EEvPT_Px
		.amdhsa_group_segment_fixed_size 148
		.amdhsa_private_segment_fixed_size 0
		.amdhsa_kernarg_size 16
		.amdhsa_user_sgpr_count 6
		.amdhsa_user_sgpr_private_segment_buffer 1
		.amdhsa_user_sgpr_dispatch_ptr 0
		.amdhsa_user_sgpr_queue_ptr 0
		.amdhsa_user_sgpr_kernarg_segment_ptr 1
		.amdhsa_user_sgpr_dispatch_id 0
		.amdhsa_user_sgpr_flat_scratch_init 0
		.amdhsa_user_sgpr_kernarg_preload_length 0
		.amdhsa_user_sgpr_kernarg_preload_offset 0
		.amdhsa_user_sgpr_private_segment_size 0
		.amdhsa_uses_dynamic_stack 0
		.amdhsa_system_sgpr_private_segment_wavefront_offset 0
		.amdhsa_system_sgpr_workgroup_id_x 1
		.amdhsa_system_sgpr_workgroup_id_y 0
		.amdhsa_system_sgpr_workgroup_id_z 0
		.amdhsa_system_sgpr_workgroup_info 0
		.amdhsa_system_vgpr_workitem_id 0
		.amdhsa_next_free_vgpr 5
		.amdhsa_next_free_sgpr 10
		.amdhsa_accum_offset 8
		.amdhsa_reserve_vcc 1
		.amdhsa_reserve_flat_scratch 0
		.amdhsa_float_round_mode_32 0
		.amdhsa_float_round_mode_16_64 0
		.amdhsa_float_denorm_mode_32 3
		.amdhsa_float_denorm_mode_16_64 3
		.amdhsa_dx10_clamp 1
		.amdhsa_ieee_mode 1
		.amdhsa_fp16_overflow 0
		.amdhsa_tg_split 0
		.amdhsa_exception_fp_ieee_invalid_op 0
		.amdhsa_exception_fp_denorm_src 0
		.amdhsa_exception_fp_ieee_div_zero 0
		.amdhsa_exception_fp_ieee_overflow 0
		.amdhsa_exception_fp_ieee_underflow 0
		.amdhsa_exception_fp_ieee_inexact 0
		.amdhsa_exception_int_div_zero 0
	.end_amdhsa_kernel
	.section	.text._Z17flag_heads_kernelI12hip_bfloat16iN10test_utils7greaterELj37ELj1EEvPT_Px,"axG",@progbits,_Z17flag_heads_kernelI12hip_bfloat16iN10test_utils7greaterELj37ELj1EEvPT_Px,comdat
.Lfunc_end13:
	.size	_Z17flag_heads_kernelI12hip_bfloat16iN10test_utils7greaterELj37ELj1EEvPT_Px, .Lfunc_end13-_Z17flag_heads_kernelI12hip_bfloat16iN10test_utils7greaterELj37ELj1EEvPT_Px
                                        ; -- End function
	.section	.AMDGPU.csdata,"",@progbits
; Kernel info:
; codeLenInByte = 284
; NumSgprs: 14
; NumVgprs: 5
; NumAgprs: 0
; TotalNumVgprs: 5
; ScratchSize: 0
; MemoryBound: 0
; FloatMode: 240
; IeeeMode: 1
; LDSByteSize: 148 bytes/workgroup (compile time only)
; SGPRBlocks: 1
; VGPRBlocks: 0
; NumSGPRsForWavesPerEU: 14
; NumVGPRsForWavesPerEU: 5
; AccumOffset: 8
; Occupancy: 8
; WaveLimiterHint : 0
; COMPUTE_PGM_RSRC2:SCRATCH_EN: 0
; COMPUTE_PGM_RSRC2:USER_SGPR: 6
; COMPUTE_PGM_RSRC2:TRAP_HANDLER: 0
; COMPUTE_PGM_RSRC2:TGID_X_EN: 1
; COMPUTE_PGM_RSRC2:TGID_Y_EN: 0
; COMPUTE_PGM_RSRC2:TGID_Z_EN: 0
; COMPUTE_PGM_RSRC2:TIDIG_COMP_CNT: 0
; COMPUTE_PGM_RSRC3_GFX90A:ACCUM_OFFSET: 1
; COMPUTE_PGM_RSRC3_GFX90A:TG_SPLIT: 0
	.section	.text._Z17flag_heads_kernelI6__halfiN10test_utils7greaterELj37ELj1EEvPT_Px,"axG",@progbits,_Z17flag_heads_kernelI6__halfiN10test_utils7greaterELj37ELj1EEvPT_Px,comdat
	.protected	_Z17flag_heads_kernelI6__halfiN10test_utils7greaterELj37ELj1EEvPT_Px ; -- Begin function _Z17flag_heads_kernelI6__halfiN10test_utils7greaterELj37ELj1EEvPT_Px
	.globl	_Z17flag_heads_kernelI6__halfiN10test_utils7greaterELj37ELj1EEvPT_Px
	.p2align	8
	.type	_Z17flag_heads_kernelI6__halfiN10test_utils7greaterELj37ELj1EEvPT_Px,@function
_Z17flag_heads_kernelI6__halfiN10test_utils7greaterELj37ELj1EEvPT_Px: ; @_Z17flag_heads_kernelI6__halfiN10test_utils7greaterELj37ELj1EEvPT_Px
; %bb.0:
	s_load_dwordx4 s[0:3], s[4:5], 0x0
	s_mul_i32 s4, s6, 37
	s_mov_b32 s5, 0
	s_lshl_b64 s[8:9], s[4:5], 1
	v_lshlrev_b32_e32 v2, 1, v0
	s_waitcnt lgkmcnt(0)
	s_add_u32 s8, s0, s8
	s_addc_u32 s9, s1, s9
	global_load_ushort v1, v2, s[8:9]
	s_bitcmp0_b32 s6, 0
	v_cmp_ne_u32_e32 vcc, 0, v0
	s_cbranch_scc1 .LBB14_4
; %bb.1:
	s_add_i32 s6, s4, -1
	s_mov_b32 s7, s5
	s_lshl_b64 s[6:7], s[6:7], 1
	s_add_u32 s0, s0, s6
	s_addc_u32 s1, s1, s7
	v_mov_b32_e32 v3, 0
	global_load_ushort v3, v3, s[0:1]
	s_waitcnt vmcnt(1)
	ds_write_b16 v2, v1
	s_waitcnt lgkmcnt(0)
	; wave barrier
	s_waitcnt lgkmcnt(0)
	s_and_saveexec_b64 s[0:1], vcc
	s_cbranch_execz .LBB14_3
; %bb.2:
	s_waitcnt vmcnt(0)
	v_add_u32_e32 v3, -2, v2
	ds_read_u16 v3, v3
.LBB14_3:
	s_or_b64 exec, exec, s[0:1]
	s_waitcnt vmcnt(0) lgkmcnt(0)
	v_cmp_lt_f16_e64 s[0:1], v3, v1
	s_branch .LBB14_8
.LBB14_4:
                                        ; implicit-def: $sgpr0_sgpr1
	s_cbranch_execz .LBB14_8
; %bb.5:
	v_cmp_ne_u32_e32 vcc, 0, v0
	s_mov_b64 s[0:1], -1
	s_waitcnt vmcnt(0)
	ds_write_b16 v2, v1
	s_waitcnt lgkmcnt(0)
	; wave barrier
	s_waitcnt lgkmcnt(0)
	s_and_saveexec_b64 s[6:7], vcc
	s_cbranch_execz .LBB14_7
; %bb.6:
	v_add_u32_e32 v2, -2, v2
	ds_read_u16 v2, v2
	s_waitcnt lgkmcnt(0)
	v_cmp_lt_f16_e32 vcc, v2, v1
	s_orn2_b64 s[0:1], vcc, exec
.LBB14_7:
	s_or_b64 exec, exec, s[6:7]
.LBB14_8:
	s_lshl_b64 s[4:5], s[4:5], 3
	s_add_u32 s2, s2, s4
	v_lshlrev_b32_e32 v2, 3, v0
	v_cndmask_b32_e64 v0, 0, 1, s[0:1]
	s_mov_b32 s0, 0
	s_addc_u32 s3, s3, s5
	s_waitcnt vmcnt(0)
	v_mov_b32_e32 v1, s0
	global_store_dwordx2 v2, v[0:1], s[2:3]
	s_endpgm
	.section	.rodata,"a",@progbits
	.p2align	6, 0x0
	.amdhsa_kernel _Z17flag_heads_kernelI6__halfiN10test_utils7greaterELj37ELj1EEvPT_Px
		.amdhsa_group_segment_fixed_size 148
		.amdhsa_private_segment_fixed_size 0
		.amdhsa_kernarg_size 16
		.amdhsa_user_sgpr_count 6
		.amdhsa_user_sgpr_private_segment_buffer 1
		.amdhsa_user_sgpr_dispatch_ptr 0
		.amdhsa_user_sgpr_queue_ptr 0
		.amdhsa_user_sgpr_kernarg_segment_ptr 1
		.amdhsa_user_sgpr_dispatch_id 0
		.amdhsa_user_sgpr_flat_scratch_init 0
		.amdhsa_user_sgpr_kernarg_preload_length 0
		.amdhsa_user_sgpr_kernarg_preload_offset 0
		.amdhsa_user_sgpr_private_segment_size 0
		.amdhsa_uses_dynamic_stack 0
		.amdhsa_system_sgpr_private_segment_wavefront_offset 0
		.amdhsa_system_sgpr_workgroup_id_x 1
		.amdhsa_system_sgpr_workgroup_id_y 0
		.amdhsa_system_sgpr_workgroup_id_z 0
		.amdhsa_system_sgpr_workgroup_info 0
		.amdhsa_system_vgpr_workitem_id 0
		.amdhsa_next_free_vgpr 4
		.amdhsa_next_free_sgpr 10
		.amdhsa_accum_offset 4
		.amdhsa_reserve_vcc 1
		.amdhsa_reserve_flat_scratch 0
		.amdhsa_float_round_mode_32 0
		.amdhsa_float_round_mode_16_64 0
		.amdhsa_float_denorm_mode_32 3
		.amdhsa_float_denorm_mode_16_64 3
		.amdhsa_dx10_clamp 1
		.amdhsa_ieee_mode 1
		.amdhsa_fp16_overflow 0
		.amdhsa_tg_split 0
		.amdhsa_exception_fp_ieee_invalid_op 0
		.amdhsa_exception_fp_denorm_src 0
		.amdhsa_exception_fp_ieee_div_zero 0
		.amdhsa_exception_fp_ieee_overflow 0
		.amdhsa_exception_fp_ieee_underflow 0
		.amdhsa_exception_fp_ieee_inexact 0
		.amdhsa_exception_int_div_zero 0
	.end_amdhsa_kernel
	.section	.text._Z17flag_heads_kernelI6__halfiN10test_utils7greaterELj37ELj1EEvPT_Px,"axG",@progbits,_Z17flag_heads_kernelI6__halfiN10test_utils7greaterELj37ELj1EEvPT_Px,comdat
.Lfunc_end14:
	.size	_Z17flag_heads_kernelI6__halfiN10test_utils7greaterELj37ELj1EEvPT_Px, .Lfunc_end14-_Z17flag_heads_kernelI6__halfiN10test_utils7greaterELj37ELj1EEvPT_Px
                                        ; -- End function
	.section	.AMDGPU.csdata,"",@progbits
; Kernel info:
; codeLenInByte = 268
; NumSgprs: 14
; NumVgprs: 4
; NumAgprs: 0
; TotalNumVgprs: 4
; ScratchSize: 0
; MemoryBound: 0
; FloatMode: 240
; IeeeMode: 1
; LDSByteSize: 148 bytes/workgroup (compile time only)
; SGPRBlocks: 1
; VGPRBlocks: 0
; NumSGPRsForWavesPerEU: 14
; NumVGPRsForWavesPerEU: 4
; AccumOffset: 4
; Occupancy: 8
; WaveLimiterHint : 0
; COMPUTE_PGM_RSRC2:SCRATCH_EN: 0
; COMPUTE_PGM_RSRC2:USER_SGPR: 6
; COMPUTE_PGM_RSRC2:TRAP_HANDLER: 0
; COMPUTE_PGM_RSRC2:TGID_X_EN: 1
; COMPUTE_PGM_RSRC2:TGID_Y_EN: 0
; COMPUTE_PGM_RSRC2:TGID_Z_EN: 0
; COMPUTE_PGM_RSRC2:TIDIG_COMP_CNT: 0
; COMPUTE_PGM_RSRC3_GFX90A:ACCUM_OFFSET: 0
; COMPUTE_PGM_RSRC3_GFX90A:TG_SPLIT: 0
	.section	.text._Z17flag_heads_kernelIfi15custom_flag_op1IfELj37ELj1EEvPT_Px,"axG",@progbits,_Z17flag_heads_kernelIfi15custom_flag_op1IfELj37ELj1EEvPT_Px,comdat
	.protected	_Z17flag_heads_kernelIfi15custom_flag_op1IfELj37ELj1EEvPT_Px ; -- Begin function _Z17flag_heads_kernelIfi15custom_flag_op1IfELj37ELj1EEvPT_Px
	.globl	_Z17flag_heads_kernelIfi15custom_flag_op1IfELj37ELj1EEvPT_Px
	.p2align	8
	.type	_Z17flag_heads_kernelIfi15custom_flag_op1IfELj37ELj1EEvPT_Px,@function
_Z17flag_heads_kernelIfi15custom_flag_op1IfELj37ELj1EEvPT_Px: ; @_Z17flag_heads_kernelIfi15custom_flag_op1IfELj37ELj1EEvPT_Px
; %bb.0:
	s_load_dwordx4 s[0:3], s[4:5], 0x0
	s_mul_i32 s4, s6, 37
	s_mov_b32 s5, 0
	s_lshl_b64 s[8:9], s[4:5], 2
	v_lshlrev_b32_e32 v2, 2, v0
	s_waitcnt lgkmcnt(0)
	s_add_u32 s8, s0, s8
	s_addc_u32 s9, s1, s9
	global_load_dword v1, v2, s[8:9]
	s_bitcmp0_b32 s6, 0
	v_cmp_ne_u32_e32 vcc, 0, v0
	s_cbranch_scc1 .LBB15_6
; %bb.1:
	s_add_i32 s6, s4, -1
	s_mov_b32 s7, s5
	s_lshl_b64 s[6:7], s[6:7], 2
	s_add_u32 s0, s0, s6
	s_addc_u32 s1, s1, s7
	s_load_dword s0, s[0:1], 0x0
	s_waitcnt vmcnt(0)
	ds_write_b32 v2, v1
	s_waitcnt lgkmcnt(0)
	; wave barrier
	s_waitcnt lgkmcnt(0)
	v_mov_b32_e32 v3, s0
	s_and_saveexec_b64 s[0:1], vcc
	s_cbranch_execz .LBB15_3
; %bb.2:
	v_add_u32_e32 v3, -4, v2
	ds_read_b32 v3, v3
.LBB15_3:
	s_or_b64 exec, exec, s[0:1]
	s_waitcnt lgkmcnt(0)
	v_cmp_neq_f32_e32 vcc, v1, v3
	s_mov_b64 s[0:1], -1
	s_and_saveexec_b64 s[6:7], vcc
; %bb.4:
	v_mul_lo_u16_e32 v3, 0xcccd, v0
	v_lshlrev_b16_e32 v4, 15, v3
	v_lshrrev_b16_e32 v3, 1, v3
	v_or_b32_e32 v3, v3, v4
	s_movk_i32 s0, 0x199a
	v_cmp_gt_u16_e32 vcc, s0, v3
	s_orn2_b64 s[0:1], vcc, exec
; %bb.5:
	s_or_b64 exec, exec, s[6:7]
	s_branch .LBB15_12
.LBB15_6:
                                        ; implicit-def: $sgpr0_sgpr1
	s_cbranch_execz .LBB15_12
; %bb.7:
	v_cmp_ne_u32_e32 vcc, 0, v0
	s_mov_b64 s[0:1], -1
	s_waitcnt vmcnt(0)
	ds_write_b32 v2, v1
	s_waitcnt lgkmcnt(0)
	; wave barrier
	s_waitcnt lgkmcnt(0)
	s_and_saveexec_b64 s[6:7], vcc
	s_cbranch_execz .LBB15_11
; %bb.8:
	v_add_u32_e32 v2, -4, v2
	ds_read_b32 v2, v2
	s_mov_b64 s[8:9], -1
	s_waitcnt lgkmcnt(0)
	v_cmp_neq_f32_e32 vcc, v1, v2
	s_and_saveexec_b64 s[0:1], vcc
; %bb.9:
	v_mul_lo_u16_e32 v1, 0xcccd, v0
	v_lshlrev_b16_e32 v2, 15, v1
	v_lshrrev_b16_e32 v1, 1, v1
	v_or_b32_e32 v1, v1, v2
	s_movk_i32 s8, 0x199a
	v_cmp_gt_u16_e32 vcc, s8, v1
	s_orn2_b64 s[8:9], vcc, exec
; %bb.10:
	s_or_b64 exec, exec, s[0:1]
	s_orn2_b64 s[0:1], s[8:9], exec
.LBB15_11:
	s_or_b64 exec, exec, s[6:7]
.LBB15_12:
	s_lshl_b64 s[4:5], s[4:5], 3
	s_add_u32 s2, s2, s4
	v_lshlrev_b32_e32 v2, 3, v0
	v_cndmask_b32_e64 v0, 0, 1, s[0:1]
	s_mov_b32 s0, 0
	s_addc_u32 s3, s3, s5
	s_waitcnt vmcnt(0)
	v_mov_b32_e32 v1, s0
	global_store_dwordx2 v2, v[0:1], s[2:3]
	s_endpgm
	.section	.rodata,"a",@progbits
	.p2align	6, 0x0
	.amdhsa_kernel _Z17flag_heads_kernelIfi15custom_flag_op1IfELj37ELj1EEvPT_Px
		.amdhsa_group_segment_fixed_size 296
		.amdhsa_private_segment_fixed_size 0
		.amdhsa_kernarg_size 16
		.amdhsa_user_sgpr_count 6
		.amdhsa_user_sgpr_private_segment_buffer 1
		.amdhsa_user_sgpr_dispatch_ptr 0
		.amdhsa_user_sgpr_queue_ptr 0
		.amdhsa_user_sgpr_kernarg_segment_ptr 1
		.amdhsa_user_sgpr_dispatch_id 0
		.amdhsa_user_sgpr_flat_scratch_init 0
		.amdhsa_user_sgpr_kernarg_preload_length 0
		.amdhsa_user_sgpr_kernarg_preload_offset 0
		.amdhsa_user_sgpr_private_segment_size 0
		.amdhsa_uses_dynamic_stack 0
		.amdhsa_system_sgpr_private_segment_wavefront_offset 0
		.amdhsa_system_sgpr_workgroup_id_x 1
		.amdhsa_system_sgpr_workgroup_id_y 0
		.amdhsa_system_sgpr_workgroup_id_z 0
		.amdhsa_system_sgpr_workgroup_info 0
		.amdhsa_system_vgpr_workitem_id 0
		.amdhsa_next_free_vgpr 5
		.amdhsa_next_free_sgpr 10
		.amdhsa_accum_offset 8
		.amdhsa_reserve_vcc 1
		.amdhsa_reserve_flat_scratch 0
		.amdhsa_float_round_mode_32 0
		.amdhsa_float_round_mode_16_64 0
		.amdhsa_float_denorm_mode_32 3
		.amdhsa_float_denorm_mode_16_64 3
		.amdhsa_dx10_clamp 1
		.amdhsa_ieee_mode 1
		.amdhsa_fp16_overflow 0
		.amdhsa_tg_split 0
		.amdhsa_exception_fp_ieee_invalid_op 0
		.amdhsa_exception_fp_denorm_src 0
		.amdhsa_exception_fp_ieee_div_zero 0
		.amdhsa_exception_fp_ieee_overflow 0
		.amdhsa_exception_fp_ieee_underflow 0
		.amdhsa_exception_fp_ieee_inexact 0
		.amdhsa_exception_int_div_zero 0
	.end_amdhsa_kernel
	.section	.text._Z17flag_heads_kernelIfi15custom_flag_op1IfELj37ELj1EEvPT_Px,"axG",@progbits,_Z17flag_heads_kernelIfi15custom_flag_op1IfELj37ELj1EEvPT_Px,comdat
.Lfunc_end15:
	.size	_Z17flag_heads_kernelIfi15custom_flag_op1IfELj37ELj1EEvPT_Px, .Lfunc_end15-_Z17flag_heads_kernelIfi15custom_flag_op1IfELj37ELj1EEvPT_Px
                                        ; -- End function
	.section	.AMDGPU.csdata,"",@progbits
; Kernel info:
; codeLenInByte = 348
; NumSgprs: 14
; NumVgprs: 5
; NumAgprs: 0
; TotalNumVgprs: 5
; ScratchSize: 0
; MemoryBound: 0
; FloatMode: 240
; IeeeMode: 1
; LDSByteSize: 296 bytes/workgroup (compile time only)
; SGPRBlocks: 1
; VGPRBlocks: 0
; NumSGPRsForWavesPerEU: 14
; NumVGPRsForWavesPerEU: 5
; AccumOffset: 8
; Occupancy: 8
; WaveLimiterHint : 0
; COMPUTE_PGM_RSRC2:SCRATCH_EN: 0
; COMPUTE_PGM_RSRC2:USER_SGPR: 6
; COMPUTE_PGM_RSRC2:TRAP_HANDLER: 0
; COMPUTE_PGM_RSRC2:TGID_X_EN: 1
; COMPUTE_PGM_RSRC2:TGID_Y_EN: 0
; COMPUTE_PGM_RSRC2:TGID_Z_EN: 0
; COMPUTE_PGM_RSRC2:TIDIG_COMP_CNT: 0
; COMPUTE_PGM_RSRC3_GFX90A:ACCUM_OFFSET: 1
; COMPUTE_PGM_RSRC3_GFX90A:TG_SPLIT: 0
	.section	.text._Z17flag_heads_kernelIdjN10test_utils7greaterELj65ELj1EEvPT_Px,"axG",@progbits,_Z17flag_heads_kernelIdjN10test_utils7greaterELj65ELj1EEvPT_Px,comdat
	.protected	_Z17flag_heads_kernelIdjN10test_utils7greaterELj65ELj1EEvPT_Px ; -- Begin function _Z17flag_heads_kernelIdjN10test_utils7greaterELj65ELj1EEvPT_Px
	.globl	_Z17flag_heads_kernelIdjN10test_utils7greaterELj65ELj1EEvPT_Px
	.p2align	8
	.type	_Z17flag_heads_kernelIdjN10test_utils7greaterELj65ELj1EEvPT_Px,@function
_Z17flag_heads_kernelIdjN10test_utils7greaterELj65ELj1EEvPT_Px: ; @_Z17flag_heads_kernelIdjN10test_utils7greaterELj65ELj1EEvPT_Px
; %bb.0:
	s_load_dwordx4 s[0:3], s[4:5], 0x0
	s_mul_i32 s8, s6, 0x41
	s_mov_b32 s9, 0
	s_lshl_b64 s[4:5], s[8:9], 3
	v_lshlrev_b32_e32 v1, 3, v0
	s_waitcnt lgkmcnt(0)
	s_add_u32 s10, s0, s4
	s_addc_u32 s11, s1, s5
	global_load_dwordx2 v[2:3], v1, s[10:11]
	s_bitcmp0_b32 s6, 0
	v_cmp_ne_u32_e32 vcc, 0, v0
	s_cbranch_scc1 .LBB16_4
; %bb.1:
	s_add_i32 s8, s8, -1
	s_lshl_b64 s[6:7], s[8:9], 3
	s_add_u32 s0, s0, s6
	s_addc_u32 s1, s1, s7
	s_load_dwordx2 s[0:1], s[0:1], 0x0
	s_waitcnt vmcnt(0)
	ds_write_b64 v1, v[2:3]
	s_waitcnt lgkmcnt(0)
	s_barrier
	v_pk_mov_b32 v[4:5], s[0:1], s[0:1] op_sel:[0,1]
	s_and_saveexec_b64 s[0:1], vcc
	s_cbranch_execz .LBB16_3
; %bb.2:
	v_add_u32_e32 v4, -8, v1
	ds_read_b64 v[4:5], v4
.LBB16_3:
	s_or_b64 exec, exec, s[0:1]
	s_waitcnt lgkmcnt(0)
	v_cmp_gt_f64_e64 s[0:1], v[2:3], v[4:5]
	s_branch .LBB16_8
.LBB16_4:
                                        ; implicit-def: $sgpr0_sgpr1
	s_cbranch_execz .LBB16_8
; %bb.5:
	v_cmp_ne_u32_e32 vcc, 0, v0
	s_mov_b64 s[0:1], -1
	s_waitcnt vmcnt(0)
	ds_write_b64 v1, v[2:3]
	s_waitcnt lgkmcnt(0)
	s_barrier
	s_and_saveexec_b64 s[6:7], vcc
	s_cbranch_execz .LBB16_7
; %bb.6:
	v_add_u32_e32 v0, -8, v1
	ds_read_b64 v[4:5], v0
	s_waitcnt lgkmcnt(0)
	v_cmp_gt_f64_e32 vcc, v[2:3], v[4:5]
	s_orn2_b64 s[0:1], vcc, exec
.LBB16_7:
	s_or_b64 exec, exec, s[6:7]
.LBB16_8:
	s_add_u32 s2, s2, s4
	s_waitcnt vmcnt(0)
	v_cndmask_b32_e64 v2, 0, 1, s[0:1]
	s_mov_b32 s0, 0
	s_addc_u32 s3, s3, s5
	v_mov_b32_e32 v3, s0
	global_store_dwordx2 v1, v[2:3], s[2:3]
	s_endpgm
	.section	.rodata,"a",@progbits
	.p2align	6, 0x0
	.amdhsa_kernel _Z17flag_heads_kernelIdjN10test_utils7greaterELj65ELj1EEvPT_Px
		.amdhsa_group_segment_fixed_size 1040
		.amdhsa_private_segment_fixed_size 0
		.amdhsa_kernarg_size 16
		.amdhsa_user_sgpr_count 6
		.amdhsa_user_sgpr_private_segment_buffer 1
		.amdhsa_user_sgpr_dispatch_ptr 0
		.amdhsa_user_sgpr_queue_ptr 0
		.amdhsa_user_sgpr_kernarg_segment_ptr 1
		.amdhsa_user_sgpr_dispatch_id 0
		.amdhsa_user_sgpr_flat_scratch_init 0
		.amdhsa_user_sgpr_kernarg_preload_length 0
		.amdhsa_user_sgpr_kernarg_preload_offset 0
		.amdhsa_user_sgpr_private_segment_size 0
		.amdhsa_uses_dynamic_stack 0
		.amdhsa_system_sgpr_private_segment_wavefront_offset 0
		.amdhsa_system_sgpr_workgroup_id_x 1
		.amdhsa_system_sgpr_workgroup_id_y 0
		.amdhsa_system_sgpr_workgroup_id_z 0
		.amdhsa_system_sgpr_workgroup_info 0
		.amdhsa_system_vgpr_workitem_id 0
		.amdhsa_next_free_vgpr 6
		.amdhsa_next_free_sgpr 12
		.amdhsa_accum_offset 8
		.amdhsa_reserve_vcc 1
		.amdhsa_reserve_flat_scratch 0
		.amdhsa_float_round_mode_32 0
		.amdhsa_float_round_mode_16_64 0
		.amdhsa_float_denorm_mode_32 3
		.amdhsa_float_denorm_mode_16_64 3
		.amdhsa_dx10_clamp 1
		.amdhsa_ieee_mode 1
		.amdhsa_fp16_overflow 0
		.amdhsa_tg_split 0
		.amdhsa_exception_fp_ieee_invalid_op 0
		.amdhsa_exception_fp_denorm_src 0
		.amdhsa_exception_fp_ieee_div_zero 0
		.amdhsa_exception_fp_ieee_overflow 0
		.amdhsa_exception_fp_ieee_underflow 0
		.amdhsa_exception_fp_ieee_inexact 0
		.amdhsa_exception_int_div_zero 0
	.end_amdhsa_kernel
	.section	.text._Z17flag_heads_kernelIdjN10test_utils7greaterELj65ELj1EEvPT_Px,"axG",@progbits,_Z17flag_heads_kernelIdjN10test_utils7greaterELj65ELj1EEvPT_Px,comdat
.Lfunc_end16:
	.size	_Z17flag_heads_kernelIdjN10test_utils7greaterELj65ELj1EEvPT_Px, .Lfunc_end16-_Z17flag_heads_kernelIdjN10test_utils7greaterELj65ELj1EEvPT_Px
                                        ; -- End function
	.section	.AMDGPU.csdata,"",@progbits
; Kernel info:
; codeLenInByte = 260
; NumSgprs: 16
; NumVgprs: 6
; NumAgprs: 0
; TotalNumVgprs: 6
; ScratchSize: 0
; MemoryBound: 0
; FloatMode: 240
; IeeeMode: 1
; LDSByteSize: 1040 bytes/workgroup (compile time only)
; SGPRBlocks: 1
; VGPRBlocks: 0
; NumSGPRsForWavesPerEU: 16
; NumVGPRsForWavesPerEU: 6
; AccumOffset: 8
; Occupancy: 8
; WaveLimiterHint : 0
; COMPUTE_PGM_RSRC2:SCRATCH_EN: 0
; COMPUTE_PGM_RSRC2:USER_SGPR: 6
; COMPUTE_PGM_RSRC2:TRAP_HANDLER: 0
; COMPUTE_PGM_RSRC2:TGID_X_EN: 1
; COMPUTE_PGM_RSRC2:TGID_Y_EN: 0
; COMPUTE_PGM_RSRC2:TGID_Z_EN: 0
; COMPUTE_PGM_RSRC2:TIDIG_COMP_CNT: 0
; COMPUTE_PGM_RSRC3_GFX90A:ACCUM_OFFSET: 1
; COMPUTE_PGM_RSRC3_GFX90A:TG_SPLIT: 0
	.section	.text._Z17flag_heads_kernelIib15custom_flag_op1IiELj256ELj1EEvPT_Px,"axG",@progbits,_Z17flag_heads_kernelIib15custom_flag_op1IiELj256ELj1EEvPT_Px,comdat
	.protected	_Z17flag_heads_kernelIib15custom_flag_op1IiELj256ELj1EEvPT_Px ; -- Begin function _Z17flag_heads_kernelIib15custom_flag_op1IiELj256ELj1EEvPT_Px
	.globl	_Z17flag_heads_kernelIib15custom_flag_op1IiELj256ELj1EEvPT_Px
	.p2align	8
	.type	_Z17flag_heads_kernelIib15custom_flag_op1IiELj256ELj1EEvPT_Px,@function
_Z17flag_heads_kernelIib15custom_flag_op1IiELj256ELj1EEvPT_Px: ; @_Z17flag_heads_kernelIib15custom_flag_op1IiELj256ELj1EEvPT_Px
; %bb.0:
	s_load_dwordx4 s[0:3], s[4:5], 0x0
	s_lshl_b32 s4, s6, 8
	s_mov_b32 s5, 0
	s_lshl_b64 s[8:9], s[4:5], 2
	v_lshlrev_b32_e32 v2, 2, v0
	s_waitcnt lgkmcnt(0)
	s_add_u32 s8, s0, s8
	s_addc_u32 s9, s1, s9
	global_load_dword v1, v2, s[8:9]
	s_bitcmp0_b32 s6, 0
	v_cmp_ne_u32_e32 vcc, 0, v0
	s_cbranch_scc1 .LBB17_6
; %bb.1:
	s_add_i32 s6, s4, -1
	s_mov_b32 s7, s5
	s_lshl_b64 s[6:7], s[6:7], 2
	s_add_u32 s0, s0, s6
	s_addc_u32 s1, s1, s7
	s_load_dword s0, s[0:1], 0x0
	s_waitcnt vmcnt(0)
	ds_write_b32 v2, v1
	s_waitcnt lgkmcnt(0)
	s_barrier
	v_mov_b32_e32 v3, s0
	s_and_saveexec_b64 s[0:1], vcc
	s_cbranch_execz .LBB17_3
; %bb.2:
	v_add_u32_e32 v3, -4, v2
	ds_read_b32 v3, v3
.LBB17_3:
	s_or_b64 exec, exec, s[0:1]
	s_waitcnt lgkmcnt(0)
	v_cmp_ne_u32_e32 vcc, v1, v3
	s_mov_b64 s[0:1], -1
	s_and_saveexec_b64 s[6:7], vcc
; %bb.4:
	v_mul_lo_u16_e32 v3, 0xcccd, v0
	v_lshlrev_b16_e32 v4, 15, v3
	v_lshrrev_b16_e32 v3, 1, v3
	v_or_b32_e32 v3, v3, v4
	s_movk_i32 s0, 0x199a
	v_cmp_gt_u16_e32 vcc, s0, v3
	s_orn2_b64 s[0:1], vcc, exec
; %bb.5:
	s_or_b64 exec, exec, s[6:7]
	s_branch .LBB17_12
.LBB17_6:
                                        ; implicit-def: $sgpr0_sgpr1
	s_cbranch_execz .LBB17_12
; %bb.7:
	v_cmp_ne_u32_e32 vcc, 0, v0
	s_mov_b64 s[0:1], -1
	s_waitcnt vmcnt(0)
	ds_write_b32 v2, v1
	s_waitcnt lgkmcnt(0)
	s_barrier
	s_and_saveexec_b64 s[6:7], vcc
	s_cbranch_execz .LBB17_11
; %bb.8:
	v_add_u32_e32 v2, -4, v2
	ds_read_b32 v2, v2
	s_mov_b64 s[8:9], -1
	s_waitcnt lgkmcnt(0)
	v_cmp_ne_u32_e32 vcc, v1, v2
	s_and_saveexec_b64 s[0:1], vcc
; %bb.9:
	v_mul_lo_u16_e32 v1, 0xcccd, v0
	v_lshlrev_b16_e32 v2, 15, v1
	v_lshrrev_b16_e32 v1, 1, v1
	v_or_b32_e32 v1, v1, v2
	s_movk_i32 s8, 0x199a
	v_cmp_gt_u16_e32 vcc, s8, v1
	s_orn2_b64 s[8:9], vcc, exec
; %bb.10:
	s_or_b64 exec, exec, s[0:1]
	s_orn2_b64 s[0:1], s[8:9], exec
.LBB17_11:
	s_or_b64 exec, exec, s[6:7]
.LBB17_12:
	s_lshl_b64 s[4:5], s[4:5], 3
	s_add_u32 s2, s2, s4
	v_lshlrev_b32_e32 v2, 3, v0
	v_cndmask_b32_e64 v0, 0, 1, s[0:1]
	s_mov_b32 s0, 0
	s_addc_u32 s3, s3, s5
	s_waitcnt vmcnt(0)
	v_mov_b32_e32 v1, s0
	global_store_dwordx2 v2, v[0:1], s[2:3]
	s_endpgm
	.section	.rodata,"a",@progbits
	.p2align	6, 0x0
	.amdhsa_kernel _Z17flag_heads_kernelIib15custom_flag_op1IiELj256ELj1EEvPT_Px
		.amdhsa_group_segment_fixed_size 2048
		.amdhsa_private_segment_fixed_size 0
		.amdhsa_kernarg_size 16
		.amdhsa_user_sgpr_count 6
		.amdhsa_user_sgpr_private_segment_buffer 1
		.amdhsa_user_sgpr_dispatch_ptr 0
		.amdhsa_user_sgpr_queue_ptr 0
		.amdhsa_user_sgpr_kernarg_segment_ptr 1
		.amdhsa_user_sgpr_dispatch_id 0
		.amdhsa_user_sgpr_flat_scratch_init 0
		.amdhsa_user_sgpr_kernarg_preload_length 0
		.amdhsa_user_sgpr_kernarg_preload_offset 0
		.amdhsa_user_sgpr_private_segment_size 0
		.amdhsa_uses_dynamic_stack 0
		.amdhsa_system_sgpr_private_segment_wavefront_offset 0
		.amdhsa_system_sgpr_workgroup_id_x 1
		.amdhsa_system_sgpr_workgroup_id_y 0
		.amdhsa_system_sgpr_workgroup_id_z 0
		.amdhsa_system_sgpr_workgroup_info 0
		.amdhsa_system_vgpr_workitem_id 0
		.amdhsa_next_free_vgpr 5
		.amdhsa_next_free_sgpr 10
		.amdhsa_accum_offset 8
		.amdhsa_reserve_vcc 1
		.amdhsa_reserve_flat_scratch 0
		.amdhsa_float_round_mode_32 0
		.amdhsa_float_round_mode_16_64 0
		.amdhsa_float_denorm_mode_32 3
		.amdhsa_float_denorm_mode_16_64 3
		.amdhsa_dx10_clamp 1
		.amdhsa_ieee_mode 1
		.amdhsa_fp16_overflow 0
		.amdhsa_tg_split 0
		.amdhsa_exception_fp_ieee_invalid_op 0
		.amdhsa_exception_fp_denorm_src 0
		.amdhsa_exception_fp_ieee_div_zero 0
		.amdhsa_exception_fp_ieee_overflow 0
		.amdhsa_exception_fp_ieee_underflow 0
		.amdhsa_exception_fp_ieee_inexact 0
		.amdhsa_exception_int_div_zero 0
	.end_amdhsa_kernel
	.section	.text._Z17flag_heads_kernelIib15custom_flag_op1IiELj256ELj1EEvPT_Px,"axG",@progbits,_Z17flag_heads_kernelIib15custom_flag_op1IiELj256ELj1EEvPT_Px,comdat
.Lfunc_end17:
	.size	_Z17flag_heads_kernelIib15custom_flag_op1IiELj256ELj1EEvPT_Px, .Lfunc_end17-_Z17flag_heads_kernelIib15custom_flag_op1IiELj256ELj1EEvPT_Px
                                        ; -- End function
	.section	.AMDGPU.csdata,"",@progbits
; Kernel info:
; codeLenInByte = 348
; NumSgprs: 14
; NumVgprs: 5
; NumAgprs: 0
; TotalNumVgprs: 5
; ScratchSize: 0
; MemoryBound: 0
; FloatMode: 240
; IeeeMode: 1
; LDSByteSize: 2048 bytes/workgroup (compile time only)
; SGPRBlocks: 1
; VGPRBlocks: 0
; NumSGPRsForWavesPerEU: 14
; NumVGPRsForWavesPerEU: 5
; AccumOffset: 8
; Occupancy: 8
; WaveLimiterHint : 0
; COMPUTE_PGM_RSRC2:SCRATCH_EN: 0
; COMPUTE_PGM_RSRC2:USER_SGPR: 6
; COMPUTE_PGM_RSRC2:TRAP_HANDLER: 0
; COMPUTE_PGM_RSRC2:TGID_X_EN: 1
; COMPUTE_PGM_RSRC2:TGID_Y_EN: 0
; COMPUTE_PGM_RSRC2:TGID_Z_EN: 0
; COMPUTE_PGM_RSRC2:TIDIG_COMP_CNT: 0
; COMPUTE_PGM_RSRC3_GFX90A:ACCUM_OFFSET: 1
; COMPUTE_PGM_RSRC3_GFX90A:TG_SPLIT: 0
	.section	.text._Z17flag_heads_kernelIccN10test_utils10less_equalELj1024ELj1EEvPT_Px,"axG",@progbits,_Z17flag_heads_kernelIccN10test_utils10less_equalELj1024ELj1EEvPT_Px,comdat
	.protected	_Z17flag_heads_kernelIccN10test_utils10less_equalELj1024ELj1EEvPT_Px ; -- Begin function _Z17flag_heads_kernelIccN10test_utils10less_equalELj1024ELj1EEvPT_Px
	.globl	_Z17flag_heads_kernelIccN10test_utils10less_equalELj1024ELj1EEvPT_Px
	.p2align	8
	.type	_Z17flag_heads_kernelIccN10test_utils10less_equalELj1024ELj1EEvPT_Px,@function
_Z17flag_heads_kernelIccN10test_utils10less_equalELj1024ELj1EEvPT_Px: ; @_Z17flag_heads_kernelIccN10test_utils10less_equalELj1024ELj1EEvPT_Px
; %bb.0:
	s_load_dwordx4 s[0:3], s[4:5], 0x0
	s_lshl_b32 s4, s6, 10
	s_mov_b32 s5, 0
	v_cmp_ne_u32_e32 vcc, 0, v0
	s_waitcnt lgkmcnt(0)
	s_add_u32 s8, s0, s4
	s_addc_u32 s9, s1, 0
	global_load_sbyte v1, v0, s[8:9]
	s_bitcmp0_b32 s6, 0
	s_cbranch_scc1 .LBB18_4
; %bb.1:
	s_add_i32 s6, s4, -1
	v_mov_b32_e32 v2, s6
	global_load_ubyte v2, v2, s[0:1]
	s_waitcnt vmcnt(1)
	ds_write_b8 v0, v1
	s_waitcnt lgkmcnt(0)
	s_barrier
	s_and_saveexec_b64 s[0:1], vcc
	s_cbranch_execz .LBB18_3
; %bb.2:
	s_waitcnt vmcnt(0)
	v_add_u32_e32 v2, -1, v0
	ds_read_u8 v2, v2
.LBB18_3:
	s_or_b64 exec, exec, s[0:1]
	s_waitcnt vmcnt(0) lgkmcnt(0)
	v_cmp_le_i16_sdwa s[0:1], v1, sext(v2) src0_sel:DWORD src1_sel:BYTE_0
	s_branch .LBB18_8
.LBB18_4:
                                        ; implicit-def: $sgpr0_sgpr1
	s_cbranch_execz .LBB18_8
; %bb.5:
	v_cmp_ne_u32_e32 vcc, 0, v0
	s_mov_b64 s[0:1], -1
	s_waitcnt vmcnt(0)
	ds_write_b8 v0, v1
	s_waitcnt lgkmcnt(0)
	s_barrier
	s_and_saveexec_b64 s[6:7], vcc
	s_cbranch_execz .LBB18_7
; %bb.6:
	v_add_u32_e32 v2, -1, v0
	ds_read_i8 v2, v2
	s_waitcnt lgkmcnt(0)
	v_cmp_le_i16_e32 vcc, v1, v2
	s_orn2_b64 s[0:1], vcc, exec
.LBB18_7:
	s_or_b64 exec, exec, s[6:7]
.LBB18_8:
	s_lshl_b64 s[4:5], s[4:5], 3
	s_add_u32 s2, s2, s4
	v_lshlrev_b32_e32 v2, 3, v0
	v_cndmask_b32_e64 v0, 0, 1, s[0:1]
	s_mov_b32 s0, 0
	s_addc_u32 s3, s3, s5
	s_waitcnt vmcnt(0)
	v_mov_b32_e32 v1, s0
	global_store_dwordx2 v2, v[0:1], s[2:3]
	s_endpgm
	.section	.rodata,"a",@progbits
	.p2align	6, 0x0
	.amdhsa_kernel _Z17flag_heads_kernelIccN10test_utils10less_equalELj1024ELj1EEvPT_Px
		.amdhsa_group_segment_fixed_size 2048
		.amdhsa_private_segment_fixed_size 0
		.amdhsa_kernarg_size 16
		.amdhsa_user_sgpr_count 6
		.amdhsa_user_sgpr_private_segment_buffer 1
		.amdhsa_user_sgpr_dispatch_ptr 0
		.amdhsa_user_sgpr_queue_ptr 0
		.amdhsa_user_sgpr_kernarg_segment_ptr 1
		.amdhsa_user_sgpr_dispatch_id 0
		.amdhsa_user_sgpr_flat_scratch_init 0
		.amdhsa_user_sgpr_kernarg_preload_length 0
		.amdhsa_user_sgpr_kernarg_preload_offset 0
		.amdhsa_user_sgpr_private_segment_size 0
		.amdhsa_uses_dynamic_stack 0
		.amdhsa_system_sgpr_private_segment_wavefront_offset 0
		.amdhsa_system_sgpr_workgroup_id_x 1
		.amdhsa_system_sgpr_workgroup_id_y 0
		.amdhsa_system_sgpr_workgroup_id_z 0
		.amdhsa_system_sgpr_workgroup_info 0
		.amdhsa_system_vgpr_workitem_id 0
		.amdhsa_next_free_vgpr 3
		.amdhsa_next_free_sgpr 10
		.amdhsa_accum_offset 4
		.amdhsa_reserve_vcc 1
		.amdhsa_reserve_flat_scratch 0
		.amdhsa_float_round_mode_32 0
		.amdhsa_float_round_mode_16_64 0
		.amdhsa_float_denorm_mode_32 3
		.amdhsa_float_denorm_mode_16_64 3
		.amdhsa_dx10_clamp 1
		.amdhsa_ieee_mode 1
		.amdhsa_fp16_overflow 0
		.amdhsa_tg_split 0
		.amdhsa_exception_fp_ieee_invalid_op 0
		.amdhsa_exception_fp_denorm_src 0
		.amdhsa_exception_fp_ieee_div_zero 0
		.amdhsa_exception_fp_ieee_overflow 0
		.amdhsa_exception_fp_ieee_underflow 0
		.amdhsa_exception_fp_ieee_inexact 0
		.amdhsa_exception_int_div_zero 0
	.end_amdhsa_kernel
	.section	.text._Z17flag_heads_kernelIccN10test_utils10less_equalELj1024ELj1EEvPT_Px,"axG",@progbits,_Z17flag_heads_kernelIccN10test_utils10less_equalELj1024ELj1EEvPT_Px,comdat
.Lfunc_end18:
	.size	_Z17flag_heads_kernelIccN10test_utils10less_equalELj1024ELj1EEvPT_Px, .Lfunc_end18-_Z17flag_heads_kernelIccN10test_utils10less_equalELj1024ELj1EEvPT_Px
                                        ; -- End function
	.section	.AMDGPU.csdata,"",@progbits
; Kernel info:
; codeLenInByte = 244
; NumSgprs: 14
; NumVgprs: 3
; NumAgprs: 0
; TotalNumVgprs: 3
; ScratchSize: 0
; MemoryBound: 0
; FloatMode: 240
; IeeeMode: 1
; LDSByteSize: 2048 bytes/workgroup (compile time only)
; SGPRBlocks: 1
; VGPRBlocks: 0
; NumSGPRsForWavesPerEU: 14
; NumVGPRsForWavesPerEU: 3
; AccumOffset: 4
; Occupancy: 8
; WaveLimiterHint : 0
; COMPUTE_PGM_RSRC2:SCRATCH_EN: 0
; COMPUTE_PGM_RSRC2:USER_SGPR: 6
; COMPUTE_PGM_RSRC2:TRAP_HANDLER: 0
; COMPUTE_PGM_RSRC2:TGID_X_EN: 1
; COMPUTE_PGM_RSRC2:TGID_Y_EN: 0
; COMPUTE_PGM_RSRC2:TGID_Z_EN: 0
; COMPUTE_PGM_RSRC2:TIDIG_COMP_CNT: 0
; COMPUTE_PGM_RSRC3_GFX90A:ACCUM_OFFSET: 0
; COMPUTE_PGM_RSRC3_GFX90A:TG_SPLIT: 0
	.section	.text._Z17flag_heads_kernelI12hip_bfloat16iN10test_utils4lessELj256ELj1EEvPT_Px,"axG",@progbits,_Z17flag_heads_kernelI12hip_bfloat16iN10test_utils4lessELj256ELj1EEvPT_Px,comdat
	.protected	_Z17flag_heads_kernelI12hip_bfloat16iN10test_utils4lessELj256ELj1EEvPT_Px ; -- Begin function _Z17flag_heads_kernelI12hip_bfloat16iN10test_utils4lessELj256ELj1EEvPT_Px
	.globl	_Z17flag_heads_kernelI12hip_bfloat16iN10test_utils4lessELj256ELj1EEvPT_Px
	.p2align	8
	.type	_Z17flag_heads_kernelI12hip_bfloat16iN10test_utils4lessELj256ELj1EEvPT_Px,@function
_Z17flag_heads_kernelI12hip_bfloat16iN10test_utils4lessELj256ELj1EEvPT_Px: ; @_Z17flag_heads_kernelI12hip_bfloat16iN10test_utils4lessELj256ELj1EEvPT_Px
; %bb.0:
	s_load_dwordx4 s[0:3], s[4:5], 0x0
	s_lshl_b32 s4, s6, 8
	s_mov_b32 s5, 0
	s_lshl_b64 s[8:9], s[4:5], 1
	v_lshlrev_b32_e32 v2, 1, v0
	s_waitcnt lgkmcnt(0)
	s_add_u32 s8, s0, s8
	s_addc_u32 s9, s1, s9
	global_load_ushort v1, v2, s[8:9]
	s_bitcmp0_b32 s6, 0
	v_cmp_ne_u32_e32 vcc, 0, v0
	s_cbranch_scc1 .LBB19_4
; %bb.1:
	s_add_i32 s6, s4, -1
	s_mov_b32 s7, s5
	s_lshl_b64 s[6:7], s[6:7], 1
	s_add_u32 s0, s0, s6
	s_addc_u32 s1, s1, s7
	v_mov_b32_e32 v3, 0
	global_load_ushort v3, v3, s[0:1]
	s_waitcnt vmcnt(1)
	ds_write_b16 v2, v1
	s_waitcnt lgkmcnt(0)
	s_barrier
	s_and_saveexec_b64 s[0:1], vcc
	s_cbranch_execz .LBB19_3
; %bb.2:
	s_waitcnt vmcnt(0)
	v_add_u32_e32 v3, -2, v2
	ds_read_u16 v3, v3
.LBB19_3:
	s_or_b64 exec, exec, s[0:1]
	s_waitcnt vmcnt(0) lgkmcnt(0)
	v_lshlrev_b32_e32 v3, 16, v3
	v_lshlrev_b32_e32 v4, 16, v1
	v_cmp_lt_f32_e64 s[0:1], v4, v3
	s_branch .LBB19_8
.LBB19_4:
                                        ; implicit-def: $sgpr0_sgpr1
	s_cbranch_execz .LBB19_8
; %bb.5:
	v_cmp_ne_u32_e32 vcc, 0, v0
	s_mov_b64 s[0:1], -1
	s_waitcnt vmcnt(0)
	ds_write_b16 v2, v1
	s_waitcnt lgkmcnt(0)
	s_barrier
	s_and_saveexec_b64 s[6:7], vcc
	s_cbranch_execz .LBB19_7
; %bb.6:
	v_add_u32_e32 v2, -2, v2
	ds_read_u16 v2, v2
	v_lshlrev_b32_e32 v1, 16, v1
	s_waitcnt lgkmcnt(0)
	v_lshlrev_b32_e32 v2, 16, v2
	v_cmp_lt_f32_e32 vcc, v1, v2
	s_orn2_b64 s[0:1], vcc, exec
.LBB19_7:
	s_or_b64 exec, exec, s[6:7]
.LBB19_8:
	s_lshl_b64 s[4:5], s[4:5], 3
	s_add_u32 s2, s2, s4
	v_lshlrev_b32_e32 v2, 3, v0
	v_cndmask_b32_e64 v0, 0, 1, s[0:1]
	s_mov_b32 s0, 0
	s_addc_u32 s3, s3, s5
	s_waitcnt vmcnt(0)
	v_mov_b32_e32 v1, s0
	global_store_dwordx2 v2, v[0:1], s[2:3]
	s_endpgm
	.section	.rodata,"a",@progbits
	.p2align	6, 0x0
	.amdhsa_kernel _Z17flag_heads_kernelI12hip_bfloat16iN10test_utils4lessELj256ELj1EEvPT_Px
		.amdhsa_group_segment_fixed_size 1024
		.amdhsa_private_segment_fixed_size 0
		.amdhsa_kernarg_size 16
		.amdhsa_user_sgpr_count 6
		.amdhsa_user_sgpr_private_segment_buffer 1
		.amdhsa_user_sgpr_dispatch_ptr 0
		.amdhsa_user_sgpr_queue_ptr 0
		.amdhsa_user_sgpr_kernarg_segment_ptr 1
		.amdhsa_user_sgpr_dispatch_id 0
		.amdhsa_user_sgpr_flat_scratch_init 0
		.amdhsa_user_sgpr_kernarg_preload_length 0
		.amdhsa_user_sgpr_kernarg_preload_offset 0
		.amdhsa_user_sgpr_private_segment_size 0
		.amdhsa_uses_dynamic_stack 0
		.amdhsa_system_sgpr_private_segment_wavefront_offset 0
		.amdhsa_system_sgpr_workgroup_id_x 1
		.amdhsa_system_sgpr_workgroup_id_y 0
		.amdhsa_system_sgpr_workgroup_id_z 0
		.amdhsa_system_sgpr_workgroup_info 0
		.amdhsa_system_vgpr_workitem_id 0
		.amdhsa_next_free_vgpr 5
		.amdhsa_next_free_sgpr 10
		.amdhsa_accum_offset 8
		.amdhsa_reserve_vcc 1
		.amdhsa_reserve_flat_scratch 0
		.amdhsa_float_round_mode_32 0
		.amdhsa_float_round_mode_16_64 0
		.amdhsa_float_denorm_mode_32 3
		.amdhsa_float_denorm_mode_16_64 3
		.amdhsa_dx10_clamp 1
		.amdhsa_ieee_mode 1
		.amdhsa_fp16_overflow 0
		.amdhsa_tg_split 0
		.amdhsa_exception_fp_ieee_invalid_op 0
		.amdhsa_exception_fp_denorm_src 0
		.amdhsa_exception_fp_ieee_div_zero 0
		.amdhsa_exception_fp_ieee_overflow 0
		.amdhsa_exception_fp_ieee_underflow 0
		.amdhsa_exception_fp_ieee_inexact 0
		.amdhsa_exception_int_div_zero 0
	.end_amdhsa_kernel
	.section	.text._Z17flag_heads_kernelI12hip_bfloat16iN10test_utils4lessELj256ELj1EEvPT_Px,"axG",@progbits,_Z17flag_heads_kernelI12hip_bfloat16iN10test_utils4lessELj256ELj1EEvPT_Px,comdat
.Lfunc_end19:
	.size	_Z17flag_heads_kernelI12hip_bfloat16iN10test_utils4lessELj256ELj1EEvPT_Px, .Lfunc_end19-_Z17flag_heads_kernelI12hip_bfloat16iN10test_utils4lessELj256ELj1EEvPT_Px
                                        ; -- End function
	.section	.AMDGPU.csdata,"",@progbits
; Kernel info:
; codeLenInByte = 284
; NumSgprs: 14
; NumVgprs: 5
; NumAgprs: 0
; TotalNumVgprs: 5
; ScratchSize: 0
; MemoryBound: 0
; FloatMode: 240
; IeeeMode: 1
; LDSByteSize: 1024 bytes/workgroup (compile time only)
; SGPRBlocks: 1
; VGPRBlocks: 0
; NumSGPRsForWavesPerEU: 14
; NumVGPRsForWavesPerEU: 5
; AccumOffset: 8
; Occupancy: 8
; WaveLimiterHint : 0
; COMPUTE_PGM_RSRC2:SCRATCH_EN: 0
; COMPUTE_PGM_RSRC2:USER_SGPR: 6
; COMPUTE_PGM_RSRC2:TRAP_HANDLER: 0
; COMPUTE_PGM_RSRC2:TGID_X_EN: 1
; COMPUTE_PGM_RSRC2:TGID_Y_EN: 0
; COMPUTE_PGM_RSRC2:TGID_Z_EN: 0
; COMPUTE_PGM_RSRC2:TIDIG_COMP_CNT: 0
; COMPUTE_PGM_RSRC3_GFX90A:ACCUM_OFFSET: 1
; COMPUTE_PGM_RSRC3_GFX90A:TG_SPLIT: 0
	.section	.text._Z17flag_heads_kernelI6__halfiN10test_utils4lessELj256ELj1EEvPT_Px,"axG",@progbits,_Z17flag_heads_kernelI6__halfiN10test_utils4lessELj256ELj1EEvPT_Px,comdat
	.protected	_Z17flag_heads_kernelI6__halfiN10test_utils4lessELj256ELj1EEvPT_Px ; -- Begin function _Z17flag_heads_kernelI6__halfiN10test_utils4lessELj256ELj1EEvPT_Px
	.globl	_Z17flag_heads_kernelI6__halfiN10test_utils4lessELj256ELj1EEvPT_Px
	.p2align	8
	.type	_Z17flag_heads_kernelI6__halfiN10test_utils4lessELj256ELj1EEvPT_Px,@function
_Z17flag_heads_kernelI6__halfiN10test_utils4lessELj256ELj1EEvPT_Px: ; @_Z17flag_heads_kernelI6__halfiN10test_utils4lessELj256ELj1EEvPT_Px
; %bb.0:
	s_load_dwordx4 s[0:3], s[4:5], 0x0
	s_lshl_b32 s4, s6, 8
	s_mov_b32 s5, 0
	s_lshl_b64 s[8:9], s[4:5], 1
	v_lshlrev_b32_e32 v2, 1, v0
	s_waitcnt lgkmcnt(0)
	s_add_u32 s8, s0, s8
	s_addc_u32 s9, s1, s9
	global_load_ushort v1, v2, s[8:9]
	s_bitcmp0_b32 s6, 0
	v_cmp_ne_u32_e32 vcc, 0, v0
	s_cbranch_scc1 .LBB20_4
; %bb.1:
	s_add_i32 s6, s4, -1
	s_mov_b32 s7, s5
	s_lshl_b64 s[6:7], s[6:7], 1
	s_add_u32 s0, s0, s6
	s_addc_u32 s1, s1, s7
	v_mov_b32_e32 v3, 0
	global_load_ushort v3, v3, s[0:1]
	s_waitcnt vmcnt(1)
	ds_write_b16 v2, v1
	s_waitcnt lgkmcnt(0)
	s_barrier
	s_and_saveexec_b64 s[0:1], vcc
	s_cbranch_execz .LBB20_3
; %bb.2:
	s_waitcnt vmcnt(0)
	v_add_u32_e32 v3, -2, v2
	ds_read_u16 v3, v3
.LBB20_3:
	s_or_b64 exec, exec, s[0:1]
	s_waitcnt vmcnt(0) lgkmcnt(0)
	v_cmp_gt_f16_e64 s[0:1], v3, v1
	s_branch .LBB20_8
.LBB20_4:
                                        ; implicit-def: $sgpr0_sgpr1
	s_cbranch_execz .LBB20_8
; %bb.5:
	v_cmp_ne_u32_e32 vcc, 0, v0
	s_mov_b64 s[0:1], -1
	s_waitcnt vmcnt(0)
	ds_write_b16 v2, v1
	s_waitcnt lgkmcnt(0)
	s_barrier
	s_and_saveexec_b64 s[6:7], vcc
	s_cbranch_execz .LBB20_7
; %bb.6:
	v_add_u32_e32 v2, -2, v2
	ds_read_u16 v2, v2
	s_waitcnt lgkmcnt(0)
	v_cmp_gt_f16_e32 vcc, v2, v1
	s_orn2_b64 s[0:1], vcc, exec
.LBB20_7:
	s_or_b64 exec, exec, s[6:7]
.LBB20_8:
	s_lshl_b64 s[4:5], s[4:5], 3
	s_add_u32 s2, s2, s4
	v_lshlrev_b32_e32 v2, 3, v0
	v_cndmask_b32_e64 v0, 0, 1, s[0:1]
	s_mov_b32 s0, 0
	s_addc_u32 s3, s3, s5
	s_waitcnt vmcnt(0)
	v_mov_b32_e32 v1, s0
	global_store_dwordx2 v2, v[0:1], s[2:3]
	s_endpgm
	.section	.rodata,"a",@progbits
	.p2align	6, 0x0
	.amdhsa_kernel _Z17flag_heads_kernelI6__halfiN10test_utils4lessELj256ELj1EEvPT_Px
		.amdhsa_group_segment_fixed_size 1024
		.amdhsa_private_segment_fixed_size 0
		.amdhsa_kernarg_size 16
		.amdhsa_user_sgpr_count 6
		.amdhsa_user_sgpr_private_segment_buffer 1
		.amdhsa_user_sgpr_dispatch_ptr 0
		.amdhsa_user_sgpr_queue_ptr 0
		.amdhsa_user_sgpr_kernarg_segment_ptr 1
		.amdhsa_user_sgpr_dispatch_id 0
		.amdhsa_user_sgpr_flat_scratch_init 0
		.amdhsa_user_sgpr_kernarg_preload_length 0
		.amdhsa_user_sgpr_kernarg_preload_offset 0
		.amdhsa_user_sgpr_private_segment_size 0
		.amdhsa_uses_dynamic_stack 0
		.amdhsa_system_sgpr_private_segment_wavefront_offset 0
		.amdhsa_system_sgpr_workgroup_id_x 1
		.amdhsa_system_sgpr_workgroup_id_y 0
		.amdhsa_system_sgpr_workgroup_id_z 0
		.amdhsa_system_sgpr_workgroup_info 0
		.amdhsa_system_vgpr_workitem_id 0
		.amdhsa_next_free_vgpr 4
		.amdhsa_next_free_sgpr 10
		.amdhsa_accum_offset 4
		.amdhsa_reserve_vcc 1
		.amdhsa_reserve_flat_scratch 0
		.amdhsa_float_round_mode_32 0
		.amdhsa_float_round_mode_16_64 0
		.amdhsa_float_denorm_mode_32 3
		.amdhsa_float_denorm_mode_16_64 3
		.amdhsa_dx10_clamp 1
		.amdhsa_ieee_mode 1
		.amdhsa_fp16_overflow 0
		.amdhsa_tg_split 0
		.amdhsa_exception_fp_ieee_invalid_op 0
		.amdhsa_exception_fp_denorm_src 0
		.amdhsa_exception_fp_ieee_div_zero 0
		.amdhsa_exception_fp_ieee_overflow 0
		.amdhsa_exception_fp_ieee_underflow 0
		.amdhsa_exception_fp_ieee_inexact 0
		.amdhsa_exception_int_div_zero 0
	.end_amdhsa_kernel
	.section	.text._Z17flag_heads_kernelI6__halfiN10test_utils4lessELj256ELj1EEvPT_Px,"axG",@progbits,_Z17flag_heads_kernelI6__halfiN10test_utils4lessELj256ELj1EEvPT_Px,comdat
.Lfunc_end20:
	.size	_Z17flag_heads_kernelI6__halfiN10test_utils4lessELj256ELj1EEvPT_Px, .Lfunc_end20-_Z17flag_heads_kernelI6__halfiN10test_utils4lessELj256ELj1EEvPT_Px
                                        ; -- End function
	.section	.AMDGPU.csdata,"",@progbits
; Kernel info:
; codeLenInByte = 268
; NumSgprs: 14
; NumVgprs: 4
; NumAgprs: 0
; TotalNumVgprs: 4
; ScratchSize: 0
; MemoryBound: 0
; FloatMode: 240
; IeeeMode: 1
; LDSByteSize: 1024 bytes/workgroup (compile time only)
; SGPRBlocks: 1
; VGPRBlocks: 0
; NumSGPRsForWavesPerEU: 14
; NumVGPRsForWavesPerEU: 4
; AccumOffset: 4
; Occupancy: 8
; WaveLimiterHint : 0
; COMPUTE_PGM_RSRC2:SCRATCH_EN: 0
; COMPUTE_PGM_RSRC2:USER_SGPR: 6
; COMPUTE_PGM_RSRC2:TRAP_HANDLER: 0
; COMPUTE_PGM_RSRC2:TGID_X_EN: 1
; COMPUTE_PGM_RSRC2:TGID_Y_EN: 0
; COMPUTE_PGM_RSRC2:TGID_Z_EN: 0
; COMPUTE_PGM_RSRC2:TIDIG_COMP_CNT: 0
; COMPUTE_PGM_RSRC3_GFX90A:ACCUM_OFFSET: 0
; COMPUTE_PGM_RSRC3_GFX90A:TG_SPLIT: 0
	.section	.text._Z17flag_heads_kernelIfiN10test_utils4lessELj256ELj1EEvPT_Px,"axG",@progbits,_Z17flag_heads_kernelIfiN10test_utils4lessELj256ELj1EEvPT_Px,comdat
	.protected	_Z17flag_heads_kernelIfiN10test_utils4lessELj256ELj1EEvPT_Px ; -- Begin function _Z17flag_heads_kernelIfiN10test_utils4lessELj256ELj1EEvPT_Px
	.globl	_Z17flag_heads_kernelIfiN10test_utils4lessELj256ELj1EEvPT_Px
	.p2align	8
	.type	_Z17flag_heads_kernelIfiN10test_utils4lessELj256ELj1EEvPT_Px,@function
_Z17flag_heads_kernelIfiN10test_utils4lessELj256ELj1EEvPT_Px: ; @_Z17flag_heads_kernelIfiN10test_utils4lessELj256ELj1EEvPT_Px
; %bb.0:
	s_load_dwordx4 s[0:3], s[4:5], 0x0
	s_lshl_b32 s4, s6, 8
	s_mov_b32 s5, 0
	s_lshl_b64 s[8:9], s[4:5], 2
	v_lshlrev_b32_e32 v2, 2, v0
	s_waitcnt lgkmcnt(0)
	s_add_u32 s8, s0, s8
	s_addc_u32 s9, s1, s9
	global_load_dword v1, v2, s[8:9]
	s_bitcmp0_b32 s6, 0
	v_cmp_ne_u32_e32 vcc, 0, v0
	s_cbranch_scc1 .LBB21_4
; %bb.1:
	s_add_i32 s6, s4, -1
	s_mov_b32 s7, s5
	s_lshl_b64 s[6:7], s[6:7], 2
	s_add_u32 s0, s0, s6
	s_addc_u32 s1, s1, s7
	s_load_dword s0, s[0:1], 0x0
	s_waitcnt vmcnt(0)
	ds_write_b32 v2, v1
	s_waitcnt lgkmcnt(0)
	s_barrier
	v_mov_b32_e32 v3, s0
	s_and_saveexec_b64 s[0:1], vcc
	s_cbranch_execz .LBB21_3
; %bb.2:
	v_add_u32_e32 v3, -4, v2
	ds_read_b32 v3, v3
.LBB21_3:
	s_or_b64 exec, exec, s[0:1]
	s_waitcnt lgkmcnt(0)
	v_cmp_lt_f32_e64 s[0:1], v1, v3
	s_branch .LBB21_8
.LBB21_4:
                                        ; implicit-def: $sgpr0_sgpr1
	s_cbranch_execz .LBB21_8
; %bb.5:
	v_cmp_ne_u32_e32 vcc, 0, v0
	s_mov_b64 s[0:1], -1
	s_waitcnt vmcnt(0)
	ds_write_b32 v2, v1
	s_waitcnt lgkmcnt(0)
	s_barrier
	s_and_saveexec_b64 s[6:7], vcc
	s_cbranch_execz .LBB21_7
; %bb.6:
	v_add_u32_e32 v2, -4, v2
	ds_read_b32 v2, v2
	s_waitcnt lgkmcnt(0)
	v_cmp_lt_f32_e32 vcc, v1, v2
	s_orn2_b64 s[0:1], vcc, exec
.LBB21_7:
	s_or_b64 exec, exec, s[6:7]
.LBB21_8:
	s_lshl_b64 s[4:5], s[4:5], 3
	s_add_u32 s2, s2, s4
	v_lshlrev_b32_e32 v2, 3, v0
	v_cndmask_b32_e64 v0, 0, 1, s[0:1]
	s_mov_b32 s0, 0
	s_addc_u32 s3, s3, s5
	s_waitcnt vmcnt(0)
	v_mov_b32_e32 v1, s0
	global_store_dwordx2 v2, v[0:1], s[2:3]
	s_endpgm
	.section	.rodata,"a",@progbits
	.p2align	6, 0x0
	.amdhsa_kernel _Z17flag_heads_kernelIfiN10test_utils4lessELj256ELj1EEvPT_Px
		.amdhsa_group_segment_fixed_size 2048
		.amdhsa_private_segment_fixed_size 0
		.amdhsa_kernarg_size 16
		.amdhsa_user_sgpr_count 6
		.amdhsa_user_sgpr_private_segment_buffer 1
		.amdhsa_user_sgpr_dispatch_ptr 0
		.amdhsa_user_sgpr_queue_ptr 0
		.amdhsa_user_sgpr_kernarg_segment_ptr 1
		.amdhsa_user_sgpr_dispatch_id 0
		.amdhsa_user_sgpr_flat_scratch_init 0
		.amdhsa_user_sgpr_kernarg_preload_length 0
		.amdhsa_user_sgpr_kernarg_preload_offset 0
		.amdhsa_user_sgpr_private_segment_size 0
		.amdhsa_uses_dynamic_stack 0
		.amdhsa_system_sgpr_private_segment_wavefront_offset 0
		.amdhsa_system_sgpr_workgroup_id_x 1
		.amdhsa_system_sgpr_workgroup_id_y 0
		.amdhsa_system_sgpr_workgroup_id_z 0
		.amdhsa_system_sgpr_workgroup_info 0
		.amdhsa_system_vgpr_workitem_id 0
		.amdhsa_next_free_vgpr 4
		.amdhsa_next_free_sgpr 10
		.amdhsa_accum_offset 4
		.amdhsa_reserve_vcc 1
		.amdhsa_reserve_flat_scratch 0
		.amdhsa_float_round_mode_32 0
		.amdhsa_float_round_mode_16_64 0
		.amdhsa_float_denorm_mode_32 3
		.amdhsa_float_denorm_mode_16_64 3
		.amdhsa_dx10_clamp 1
		.amdhsa_ieee_mode 1
		.amdhsa_fp16_overflow 0
		.amdhsa_tg_split 0
		.amdhsa_exception_fp_ieee_invalid_op 0
		.amdhsa_exception_fp_denorm_src 0
		.amdhsa_exception_fp_ieee_div_zero 0
		.amdhsa_exception_fp_ieee_overflow 0
		.amdhsa_exception_fp_ieee_underflow 0
		.amdhsa_exception_fp_ieee_inexact 0
		.amdhsa_exception_int_div_zero 0
	.end_amdhsa_kernel
	.section	.text._Z17flag_heads_kernelIfiN10test_utils4lessELj256ELj1EEvPT_Px,"axG",@progbits,_Z17flag_heads_kernelIfiN10test_utils4lessELj256ELj1EEvPT_Px,comdat
.Lfunc_end21:
	.size	_Z17flag_heads_kernelIfiN10test_utils4lessELj256ELj1EEvPT_Px, .Lfunc_end21-_Z17flag_heads_kernelIfiN10test_utils4lessELj256ELj1EEvPT_Px
                                        ; -- End function
	.section	.AMDGPU.csdata,"",@progbits
; Kernel info:
; codeLenInByte = 264
; NumSgprs: 14
; NumVgprs: 4
; NumAgprs: 0
; TotalNumVgprs: 4
; ScratchSize: 0
; MemoryBound: 0
; FloatMode: 240
; IeeeMode: 1
; LDSByteSize: 2048 bytes/workgroup (compile time only)
; SGPRBlocks: 1
; VGPRBlocks: 0
; NumSGPRsForWavesPerEU: 14
; NumVGPRsForWavesPerEU: 4
; AccumOffset: 4
; Occupancy: 8
; WaveLimiterHint : 0
; COMPUTE_PGM_RSRC2:SCRATCH_EN: 0
; COMPUTE_PGM_RSRC2:USER_SGPR: 6
; COMPUTE_PGM_RSRC2:TRAP_HANDLER: 0
; COMPUTE_PGM_RSRC2:TGID_X_EN: 1
; COMPUTE_PGM_RSRC2:TGID_Y_EN: 0
; COMPUTE_PGM_RSRC2:TGID_Z_EN: 0
; COMPUTE_PGM_RSRC2:TIDIG_COMP_CNT: 0
; COMPUTE_PGM_RSRC3_GFX90A:ACCUM_OFFSET: 0
; COMPUTE_PGM_RSRC3_GFX90A:TG_SPLIT: 0
	.section	.text._Z17flag_heads_kernelIibN6hipcub10InequalityELj128ELj1EEvPT_Px,"axG",@progbits,_Z17flag_heads_kernelIibN6hipcub10InequalityELj128ELj1EEvPT_Px,comdat
	.protected	_Z17flag_heads_kernelIibN6hipcub10InequalityELj128ELj1EEvPT_Px ; -- Begin function _Z17flag_heads_kernelIibN6hipcub10InequalityELj128ELj1EEvPT_Px
	.globl	_Z17flag_heads_kernelIibN6hipcub10InequalityELj128ELj1EEvPT_Px
	.p2align	8
	.type	_Z17flag_heads_kernelIibN6hipcub10InequalityELj128ELj1EEvPT_Px,@function
_Z17flag_heads_kernelIibN6hipcub10InequalityELj128ELj1EEvPT_Px: ; @_Z17flag_heads_kernelIibN6hipcub10InequalityELj128ELj1EEvPT_Px
; %bb.0:
	s_load_dwordx4 s[0:3], s[4:5], 0x0
	s_lshl_b32 s4, s6, 7
	s_mov_b32 s5, 0
	s_lshl_b64 s[8:9], s[4:5], 2
	v_lshlrev_b32_e32 v2, 2, v0
	s_waitcnt lgkmcnt(0)
	s_add_u32 s8, s0, s8
	s_addc_u32 s9, s1, s9
	global_load_dword v1, v2, s[8:9]
	s_bitcmp0_b32 s6, 0
	v_cmp_ne_u32_e32 vcc, 0, v0
	s_cbranch_scc1 .LBB22_4
; %bb.1:
	s_add_i32 s6, s4, -1
	s_mov_b32 s7, s5
	s_lshl_b64 s[6:7], s[6:7], 2
	s_add_u32 s0, s0, s6
	s_addc_u32 s1, s1, s7
	s_load_dword s0, s[0:1], 0x0
	s_waitcnt vmcnt(0)
	ds_write_b32 v2, v1
	s_waitcnt lgkmcnt(0)
	s_barrier
	v_mov_b32_e32 v3, s0
	s_and_saveexec_b64 s[0:1], vcc
	s_cbranch_execz .LBB22_3
; %bb.2:
	v_add_u32_e32 v3, -4, v2
	ds_read_b32 v3, v3
.LBB22_3:
	s_or_b64 exec, exec, s[0:1]
	s_waitcnt lgkmcnt(0)
	v_cmp_ne_u32_e64 s[0:1], v1, v3
	s_branch .LBB22_8
.LBB22_4:
                                        ; implicit-def: $sgpr0_sgpr1
	s_cbranch_execz .LBB22_8
; %bb.5:
	v_cmp_ne_u32_e32 vcc, 0, v0
	s_mov_b64 s[0:1], -1
	s_waitcnt vmcnt(0)
	ds_write_b32 v2, v1
	s_waitcnt lgkmcnt(0)
	s_barrier
	s_and_saveexec_b64 s[6:7], vcc
	s_cbranch_execz .LBB22_7
; %bb.6:
	v_add_u32_e32 v2, -4, v2
	ds_read_b32 v2, v2
	s_waitcnt lgkmcnt(0)
	v_cmp_ne_u32_e32 vcc, v1, v2
	s_orn2_b64 s[0:1], vcc, exec
.LBB22_7:
	s_or_b64 exec, exec, s[6:7]
.LBB22_8:
	s_lshl_b64 s[4:5], s[4:5], 3
	s_add_u32 s2, s2, s4
	v_lshlrev_b32_e32 v2, 3, v0
	v_cndmask_b32_e64 v0, 0, 1, s[0:1]
	s_mov_b32 s0, 0
	s_addc_u32 s3, s3, s5
	s_waitcnt vmcnt(0)
	v_mov_b32_e32 v1, s0
	global_store_dwordx2 v2, v[0:1], s[2:3]
	s_endpgm
	.section	.rodata,"a",@progbits
	.p2align	6, 0x0
	.amdhsa_kernel _Z17flag_heads_kernelIibN6hipcub10InequalityELj128ELj1EEvPT_Px
		.amdhsa_group_segment_fixed_size 1024
		.amdhsa_private_segment_fixed_size 0
		.amdhsa_kernarg_size 16
		.amdhsa_user_sgpr_count 6
		.amdhsa_user_sgpr_private_segment_buffer 1
		.amdhsa_user_sgpr_dispatch_ptr 0
		.amdhsa_user_sgpr_queue_ptr 0
		.amdhsa_user_sgpr_kernarg_segment_ptr 1
		.amdhsa_user_sgpr_dispatch_id 0
		.amdhsa_user_sgpr_flat_scratch_init 0
		.amdhsa_user_sgpr_kernarg_preload_length 0
		.amdhsa_user_sgpr_kernarg_preload_offset 0
		.amdhsa_user_sgpr_private_segment_size 0
		.amdhsa_uses_dynamic_stack 0
		.amdhsa_system_sgpr_private_segment_wavefront_offset 0
		.amdhsa_system_sgpr_workgroup_id_x 1
		.amdhsa_system_sgpr_workgroup_id_y 0
		.amdhsa_system_sgpr_workgroup_id_z 0
		.amdhsa_system_sgpr_workgroup_info 0
		.amdhsa_system_vgpr_workitem_id 0
		.amdhsa_next_free_vgpr 4
		.amdhsa_next_free_sgpr 10
		.amdhsa_accum_offset 4
		.amdhsa_reserve_vcc 1
		.amdhsa_reserve_flat_scratch 0
		.amdhsa_float_round_mode_32 0
		.amdhsa_float_round_mode_16_64 0
		.amdhsa_float_denorm_mode_32 3
		.amdhsa_float_denorm_mode_16_64 3
		.amdhsa_dx10_clamp 1
		.amdhsa_ieee_mode 1
		.amdhsa_fp16_overflow 0
		.amdhsa_tg_split 0
		.amdhsa_exception_fp_ieee_invalid_op 0
		.amdhsa_exception_fp_denorm_src 0
		.amdhsa_exception_fp_ieee_div_zero 0
		.amdhsa_exception_fp_ieee_overflow 0
		.amdhsa_exception_fp_ieee_underflow 0
		.amdhsa_exception_fp_ieee_inexact 0
		.amdhsa_exception_int_div_zero 0
	.end_amdhsa_kernel
	.section	.text._Z17flag_heads_kernelIibN6hipcub10InequalityELj128ELj1EEvPT_Px,"axG",@progbits,_Z17flag_heads_kernelIibN6hipcub10InequalityELj128ELj1EEvPT_Px,comdat
.Lfunc_end22:
	.size	_Z17flag_heads_kernelIibN6hipcub10InequalityELj128ELj1EEvPT_Px, .Lfunc_end22-_Z17flag_heads_kernelIibN6hipcub10InequalityELj128ELj1EEvPT_Px
                                        ; -- End function
	.section	.AMDGPU.csdata,"",@progbits
; Kernel info:
; codeLenInByte = 264
; NumSgprs: 14
; NumVgprs: 4
; NumAgprs: 0
; TotalNumVgprs: 4
; ScratchSize: 0
; MemoryBound: 0
; FloatMode: 240
; IeeeMode: 1
; LDSByteSize: 1024 bytes/workgroup (compile time only)
; SGPRBlocks: 1
; VGPRBlocks: 0
; NumSGPRsForWavesPerEU: 14
; NumVGPRsForWavesPerEU: 4
; AccumOffset: 4
; Occupancy: 8
; WaveLimiterHint : 0
; COMPUTE_PGM_RSRC2:SCRATCH_EN: 0
; COMPUTE_PGM_RSRC2:USER_SGPR: 6
; COMPUTE_PGM_RSRC2:TRAP_HANDLER: 0
; COMPUTE_PGM_RSRC2:TGID_X_EN: 1
; COMPUTE_PGM_RSRC2:TGID_Y_EN: 0
; COMPUTE_PGM_RSRC2:TGID_Z_EN: 0
; COMPUTE_PGM_RSRC2:TIDIG_COMP_CNT: 0
; COMPUTE_PGM_RSRC3_GFX90A:ACCUM_OFFSET: 0
; COMPUTE_PGM_RSRC3_GFX90A:TG_SPLIT: 0
	.section	.text._Z17flag_heads_kernelIjiN6hipcub8EqualityELj64ELj1EEvPT_Px,"axG",@progbits,_Z17flag_heads_kernelIjiN6hipcub8EqualityELj64ELj1EEvPT_Px,comdat
	.protected	_Z17flag_heads_kernelIjiN6hipcub8EqualityELj64ELj1EEvPT_Px ; -- Begin function _Z17flag_heads_kernelIjiN6hipcub8EqualityELj64ELj1EEvPT_Px
	.globl	_Z17flag_heads_kernelIjiN6hipcub8EqualityELj64ELj1EEvPT_Px
	.p2align	8
	.type	_Z17flag_heads_kernelIjiN6hipcub8EqualityELj64ELj1EEvPT_Px,@function
_Z17flag_heads_kernelIjiN6hipcub8EqualityELj64ELj1EEvPT_Px: ; @_Z17flag_heads_kernelIjiN6hipcub8EqualityELj64ELj1EEvPT_Px
; %bb.0:
	s_load_dwordx4 s[0:3], s[4:5], 0x0
	s_lshl_b32 s4, s6, 6
	s_mov_b32 s5, 0
	s_lshl_b64 s[8:9], s[4:5], 2
	v_lshlrev_b32_e32 v2, 2, v0
	s_waitcnt lgkmcnt(0)
	s_add_u32 s8, s0, s8
	s_addc_u32 s9, s1, s9
	global_load_dword v1, v2, s[8:9]
	s_bitcmp0_b32 s6, 0
	v_cmp_ne_u32_e32 vcc, 0, v0
	s_cbranch_scc1 .LBB23_4
; %bb.1:
	s_add_i32 s6, s4, -1
	s_mov_b32 s7, s5
	s_lshl_b64 s[6:7], s[6:7], 2
	s_add_u32 s0, s0, s6
	s_addc_u32 s1, s1, s7
	s_load_dword s0, s[0:1], 0x0
	s_waitcnt vmcnt(0)
	ds_write_b32 v2, v1
	s_waitcnt lgkmcnt(0)
	; wave barrier
	s_waitcnt lgkmcnt(0)
	v_mov_b32_e32 v3, s0
	s_and_saveexec_b64 s[0:1], vcc
	s_cbranch_execz .LBB23_3
; %bb.2:
	v_add_u32_e32 v3, -4, v2
	ds_read_b32 v3, v3
.LBB23_3:
	s_or_b64 exec, exec, s[0:1]
	s_waitcnt lgkmcnt(0)
	v_cmp_eq_u32_e64 s[0:1], v1, v3
	s_branch .LBB23_8
.LBB23_4:
                                        ; implicit-def: $sgpr0_sgpr1
	s_cbranch_execz .LBB23_8
; %bb.5:
	v_cmp_ne_u32_e32 vcc, 0, v0
	s_mov_b64 s[0:1], -1
	s_waitcnt vmcnt(0)
	ds_write_b32 v2, v1
	s_waitcnt lgkmcnt(0)
	; wave barrier
	s_waitcnt lgkmcnt(0)
	s_and_saveexec_b64 s[6:7], vcc
	s_cbranch_execz .LBB23_7
; %bb.6:
	v_add_u32_e32 v2, -4, v2
	ds_read_b32 v2, v2
	s_waitcnt lgkmcnt(0)
	v_cmp_eq_u32_e32 vcc, v1, v2
	s_orn2_b64 s[0:1], vcc, exec
.LBB23_7:
	s_or_b64 exec, exec, s[6:7]
.LBB23_8:
	s_lshl_b64 s[4:5], s[4:5], 3
	s_add_u32 s2, s2, s4
	v_lshlrev_b32_e32 v2, 3, v0
	v_cndmask_b32_e64 v0, 0, 1, s[0:1]
	s_mov_b32 s0, 0
	s_addc_u32 s3, s3, s5
	s_waitcnt vmcnt(0)
	v_mov_b32_e32 v1, s0
	global_store_dwordx2 v2, v[0:1], s[2:3]
	s_endpgm
	.section	.rodata,"a",@progbits
	.p2align	6, 0x0
	.amdhsa_kernel _Z17flag_heads_kernelIjiN6hipcub8EqualityELj64ELj1EEvPT_Px
		.amdhsa_group_segment_fixed_size 512
		.amdhsa_private_segment_fixed_size 0
		.amdhsa_kernarg_size 16
		.amdhsa_user_sgpr_count 6
		.amdhsa_user_sgpr_private_segment_buffer 1
		.amdhsa_user_sgpr_dispatch_ptr 0
		.amdhsa_user_sgpr_queue_ptr 0
		.amdhsa_user_sgpr_kernarg_segment_ptr 1
		.amdhsa_user_sgpr_dispatch_id 0
		.amdhsa_user_sgpr_flat_scratch_init 0
		.amdhsa_user_sgpr_kernarg_preload_length 0
		.amdhsa_user_sgpr_kernarg_preload_offset 0
		.amdhsa_user_sgpr_private_segment_size 0
		.amdhsa_uses_dynamic_stack 0
		.amdhsa_system_sgpr_private_segment_wavefront_offset 0
		.amdhsa_system_sgpr_workgroup_id_x 1
		.amdhsa_system_sgpr_workgroup_id_y 0
		.amdhsa_system_sgpr_workgroup_id_z 0
		.amdhsa_system_sgpr_workgroup_info 0
		.amdhsa_system_vgpr_workitem_id 0
		.amdhsa_next_free_vgpr 4
		.amdhsa_next_free_sgpr 10
		.amdhsa_accum_offset 4
		.amdhsa_reserve_vcc 1
		.amdhsa_reserve_flat_scratch 0
		.amdhsa_float_round_mode_32 0
		.amdhsa_float_round_mode_16_64 0
		.amdhsa_float_denorm_mode_32 3
		.amdhsa_float_denorm_mode_16_64 3
		.amdhsa_dx10_clamp 1
		.amdhsa_ieee_mode 1
		.amdhsa_fp16_overflow 0
		.amdhsa_tg_split 0
		.amdhsa_exception_fp_ieee_invalid_op 0
		.amdhsa_exception_fp_denorm_src 0
		.amdhsa_exception_fp_ieee_div_zero 0
		.amdhsa_exception_fp_ieee_overflow 0
		.amdhsa_exception_fp_ieee_underflow 0
		.amdhsa_exception_fp_ieee_inexact 0
		.amdhsa_exception_int_div_zero 0
	.end_amdhsa_kernel
	.section	.text._Z17flag_heads_kernelIjiN6hipcub8EqualityELj64ELj1EEvPT_Px,"axG",@progbits,_Z17flag_heads_kernelIjiN6hipcub8EqualityELj64ELj1EEvPT_Px,comdat
.Lfunc_end23:
	.size	_Z17flag_heads_kernelIjiN6hipcub8EqualityELj64ELj1EEvPT_Px, .Lfunc_end23-_Z17flag_heads_kernelIjiN6hipcub8EqualityELj64ELj1EEvPT_Px
                                        ; -- End function
	.section	.AMDGPU.csdata,"",@progbits
; Kernel info:
; codeLenInByte = 264
; NumSgprs: 14
; NumVgprs: 4
; NumAgprs: 0
; TotalNumVgprs: 4
; ScratchSize: 0
; MemoryBound: 0
; FloatMode: 240
; IeeeMode: 1
; LDSByteSize: 512 bytes/workgroup (compile time only)
; SGPRBlocks: 1
; VGPRBlocks: 0
; NumSGPRsForWavesPerEU: 14
; NumVGPRsForWavesPerEU: 4
; AccumOffset: 4
; Occupancy: 8
; WaveLimiterHint : 0
; COMPUTE_PGM_RSRC2:SCRATCH_EN: 0
; COMPUTE_PGM_RSRC2:USER_SGPR: 6
; COMPUTE_PGM_RSRC2:TRAP_HANDLER: 0
; COMPUTE_PGM_RSRC2:TGID_X_EN: 1
; COMPUTE_PGM_RSRC2:TGID_Y_EN: 0
; COMPUTE_PGM_RSRC2:TGID_Z_EN: 0
; COMPUTE_PGM_RSRC2:TIDIG_COMP_CNT: 0
; COMPUTE_PGM_RSRC3_GFX90A:ACCUM_OFFSET: 0
; COMPUTE_PGM_RSRC3_GFX90A:TG_SPLIT: 0
	.section	.text._Z17flag_tails_kernelIsb15custom_flag_op1IsELj234ELj9EEvPT_Px,"axG",@progbits,_Z17flag_tails_kernelIsb15custom_flag_op1IsELj234ELj9EEvPT_Px,comdat
	.protected	_Z17flag_tails_kernelIsb15custom_flag_op1IsELj234ELj9EEvPT_Px ; -- Begin function _Z17flag_tails_kernelIsb15custom_flag_op1IsELj234ELj9EEvPT_Px
	.globl	_Z17flag_tails_kernelIsb15custom_flag_op1IsELj234ELj9EEvPT_Px
	.p2align	8
	.type	_Z17flag_tails_kernelIsb15custom_flag_op1IsELj234ELj9EEvPT_Px,@function
_Z17flag_tails_kernelIsb15custom_flag_op1IsELj234ELj9EEvPT_Px: ; @_Z17flag_tails_kernelIsb15custom_flag_op1IsELj234ELj9EEvPT_Px
; %bb.0:
	s_load_dwordx4 s[0:3], s[4:5], 0x0
	s_mul_i32 s4, s6, 0x83a
	s_mov_b32 s5, 0
	s_lshl_b64 s[8:9], s[4:5], 1
	v_mul_u32_u24_e32 v1, 9, v0
	s_waitcnt lgkmcnt(0)
	s_add_u32 s8, s0, s8
	s_addc_u32 s9, s1, s9
	v_lshlrev_b32_e32 v7, 1, v1
	global_load_dwordx4 v[2:5], v7, s[8:9]
	global_load_ushort v6, v7, s[8:9] offset:16
	s_bitcmp1_b32 s6, 0
	s_cselect_b64 s[6:7], -1, 0
	v_lshlrev_b32_e32 v7, 1, v0
	s_and_b64 vcc, exec, s[6:7]
	s_waitcnt vmcnt(1)
	v_cmp_ne_u16_sdwa s[12:13], v2, v2 src0_sel:WORD_1 src1_sel:DWORD
	s_cbranch_vccz .LBB24_22
; %bb.1:
	s_mov_b64 s[8:9], -1
	s_mov_b64 s[6:7], -1
	ds_write_b16 v7, v2 offset:468
	s_and_saveexec_b64 s[10:11], s[12:13]
; %bb.2:
	s_movk_i32 s6, 0xcccd
	v_mad_legacy_u16 v8, v1, s6, s6
	v_lshlrev_b16_e32 v9, 15, v8
	v_lshrrev_b16_e32 v8, 1, v8
	v_or_b32_e32 v8, v8, v9
	s_movk_i32 s6, 0x199a
	v_cmp_gt_u16_e32 vcc, s6, v8
	s_orn2_b64 s[6:7], vcc, exec
; %bb.3:
	s_or_b64 exec, exec, s[10:11]
	v_cmp_ne_u16_sdwa s[12:13], v3, v2 src0_sel:DWORD src1_sel:WORD_1
	s_and_saveexec_b64 s[10:11], s[12:13]
; %bb.4:
	s_movk_i32 s8, 0xcccd
	v_mov_b32_e32 v8, 0xffff999a
	v_mad_legacy_u16 v8, v1, s8, v8
	v_lshlrev_b16_e32 v9, 15, v8
	v_lshrrev_b16_e32 v8, 1, v8
	v_or_b32_e32 v8, v8, v9
	s_movk_i32 s8, 0x199a
	v_cmp_gt_u16_e32 vcc, s8, v8
	s_orn2_b64 s[8:9], vcc, exec
; %bb.5:
	s_or_b64 exec, exec, s[10:11]
	v_cmp_ne_u16_sdwa s[16:17], v3, v3 src0_sel:WORD_1 src1_sel:DWORD
	s_mov_b64 s[12:13], -1
	s_mov_b64 s[10:11], -1
	s_and_saveexec_b64 s[14:15], s[16:17]
; %bb.6:
	s_movk_i32 s10, 0xcccd
	v_mov_b32_e32 v8, 0x6667
	v_mad_legacy_u16 v8, v1, s10, v8
	v_lshlrev_b16_e32 v9, 15, v8
	v_lshrrev_b16_e32 v8, 1, v8
	v_or_b32_e32 v8, v8, v9
	s_movk_i32 s10, 0x199a
	v_cmp_gt_u16_e32 vcc, s10, v8
	s_orn2_b64 s[10:11], vcc, exec
; %bb.7:
	s_or_b64 exec, exec, s[14:15]
	v_cmp_ne_u16_sdwa s[16:17], v4, v3 src0_sel:DWORD src1_sel:WORD_1
	s_and_saveexec_b64 s[14:15], s[16:17]
; %bb.8:
	s_movk_i32 s12, 0xcccd
	v_mov_b32_e32 v8, 0x3334
	v_mad_legacy_u16 v8, v1, s12, v8
	v_lshlrev_b16_e32 v9, 15, v8
	v_lshrrev_b16_e32 v8, 1, v8
	v_or_b32_e32 v8, v8, v9
	s_movk_i32 s12, 0x199a
	v_cmp_gt_u16_e32 vcc, s12, v8
	s_orn2_b64 s[12:13], vcc, exec
; %bb.9:
	s_or_b64 exec, exec, s[14:15]
	v_cmp_ne_u16_sdwa s[20:21], v4, v4 src0_sel:WORD_1 src1_sel:DWORD
	s_mov_b64 s[16:17], -1
	s_mov_b64 s[14:15], -1
	s_and_saveexec_b64 s[18:19], s[20:21]
; %bb.10:
	s_movk_i32 s14, 0xcccd
	v_mad_legacy_u16 v8, v1, s14, 1
	v_lshlrev_b16_e32 v9, 15, v8
	v_lshrrev_b16_e32 v8, 1, v8
	v_or_b32_e32 v8, v8, v9
	s_movk_i32 s14, 0x199a
	v_cmp_gt_u16_e32 vcc, s14, v8
	s_orn2_b64 s[14:15], vcc, exec
; %bb.11:
	s_or_b64 exec, exec, s[18:19]
	v_cmp_ne_u16_sdwa s[20:21], v5, v4 src0_sel:DWORD src1_sel:WORD_1
	s_and_saveexec_b64 s[18:19], s[20:21]
; %bb.12:
	s_movk_i32 s16, 0xcccd
	v_mov_b32_e32 v8, 0xffffccce
	v_mad_legacy_u16 v8, v1, s16, v8
	v_lshlrev_b16_e32 v9, 15, v8
	v_lshrrev_b16_e32 v8, 1, v8
	v_or_b32_e32 v8, v8, v9
	s_movk_i32 s16, 0x199a
	v_cmp_gt_u16_e32 vcc, s16, v8
	s_orn2_b64 s[16:17], vcc, exec
; %bb.13:
	s_or_b64 exec, exec, s[18:19]
	v_cmp_ne_u16_sdwa s[24:25], v5, v5 src0_sel:WORD_1 src1_sel:DWORD
	s_mov_b64 s[18:19], -1
	s_mov_b64 s[20:21], -1
	s_and_saveexec_b64 s[22:23], s[24:25]
; %bb.14:
	s_movk_i32 s20, 0xcccd
	v_mov_b32_e32 v8, 0xffff999b
	v_mad_legacy_u16 v8, v1, s20, v8
	v_lshlrev_b16_e32 v9, 15, v8
	v_lshrrev_b16_e32 v8, 1, v8
	v_or_b32_e32 v8, v8, v9
	s_movk_i32 s20, 0x199a
	v_cmp_gt_u16_e32 vcc, s20, v8
	s_orn2_b64 s[20:21], vcc, exec
; %bb.15:
	s_or_b64 exec, exec, s[22:23]
	s_waitcnt vmcnt(0)
	v_cmp_ne_u16_sdwa s[24:25], v6, v5 src0_sel:DWORD src1_sel:WORD_1
	s_and_saveexec_b64 s[22:23], s[24:25]
; %bb.16:
	s_movk_i32 s18, 0xcccd
	v_mov_b32_e32 v8, 0x6668
	v_mad_legacy_u16 v8, v1, s18, v8
	v_lshlrev_b16_e32 v9, 15, v8
	v_lshrrev_b16_e32 v8, 1, v8
	v_or_b32_e32 v8, v8, v9
	s_movk_i32 s18, 0x199a
	v_cmp_gt_u16_e32 vcc, s18, v8
	s_orn2_b64 s[18:19], vcc, exec
; %bb.17:
	s_or_b64 exec, exec, s[22:23]
	v_cndmask_b32_e64 v10, 0, 1, s[16:17]
	v_cndmask_b32_e64 v11, 0, 1, s[14:15]
	;; [unrolled: 1-line block ×5, first 2 shown]
	v_lshlrev_b16_e32 v10, 8, v10
	v_cndmask_b32_e64 v8, 0, 1, s[20:21]
	v_cndmask_b32_e64 v12, 0, 1, s[10:11]
	;; [unrolled: 1-line block ×3, first 2 shown]
	v_lshlrev_b16_e32 v13, 8, v13
	v_lshlrev_b16_e32 v9, 8, v9
	v_or_b32_e32 v10, v11, v10
	v_lshlrev_b16_e32 v11, 8, v15
	v_or_b32_e32 v13, v14, v13
	v_or_b32_sdwa v9, v12, v9 dst_sel:WORD_1 dst_unused:UNUSED_PAD src0_sel:DWORD src1_sel:DWORD
	v_or_b32_sdwa v8, v8, v11 dst_sel:WORD_1 dst_unused:UNUSED_PAD src0_sel:DWORD src1_sel:DWORD
	s_movk_i32 s6, 0xe9
	v_or_b32_sdwa v9, v13, v9 dst_sel:DWORD dst_unused:UNUSED_PAD src0_sel:WORD_0 src1_sel:DWORD
	v_or_b32_sdwa v8, v10, v8 dst_sel:DWORD dst_unused:UNUSED_PAD src0_sel:WORD_0 src1_sel:DWORD
	v_mov_b32_e32 v10, 1
	v_cmp_ne_u32_e32 vcc, s6, v0
	s_waitcnt lgkmcnt(0)
	s_barrier
	s_and_saveexec_b64 s[6:7], vcc
	s_cbranch_execz .LBB24_21
; %bb.18:
	ds_read_u16 v10, v7 offset:470
	s_mov_b64 s[10:11], -1
	s_waitcnt lgkmcnt(0)
	v_cmp_ne_u16_e32 vcc, v10, v6
	s_and_saveexec_b64 s[8:9], vcc
; %bb.19:
	s_movk_i32 s10, 0xcccd
	v_mov_b32_e32 v10, 0x3335
	v_mad_legacy_u16 v10, v1, s10, v10
	v_lshlrev_b16_e32 v11, 15, v10
	v_lshrrev_b16_e32 v10, 1, v10
	v_or_b32_e32 v10, v10, v11
	s_movk_i32 s10, 0x199a
	v_cmp_gt_u16_e32 vcc, s10, v10
	s_orn2_b64 s[10:11], vcc, exec
; %bb.20:
	s_or_b64 exec, exec, s[8:9]
	v_cndmask_b32_e64 v10, 0, 1, s[10:11]
.LBB24_21:
	s_or_b64 exec, exec, s[6:7]
	s_branch .LBB24_44
.LBB24_22:
                                        ; implicit-def: $vgpr10
                                        ; implicit-def: $vgpr8
                                        ; implicit-def: $vgpr9
	s_cbranch_execz .LBB24_44
; %bb.23:
	s_add_i32 s6, s4, 0x83a
	s_mov_b32 s7, 0
	s_lshl_b64 s[6:7], s[6:7], 1
	s_add_u32 s0, s0, s6
	s_addc_u32 s1, s1, s7
	v_mov_b32_e32 v8, 0
	global_load_ushort v8, v8, s[0:1]
	v_cmp_ne_u16_sdwa s[10:11], v2, v2 src0_sel:WORD_1 src1_sel:DWORD
	s_mov_b64 s[0:1], -1
	s_mov_b64 s[6:7], -1
	ds_write_b16 v7, v2 offset:468
	s_and_saveexec_b64 s[8:9], s[10:11]
; %bb.24:
	s_movk_i32 s6, 0xcccd
	v_mad_legacy_u16 v9, v1, s6, s6
	v_lshlrev_b16_e32 v10, 15, v9
	v_lshrrev_b16_e32 v9, 1, v9
	v_or_b32_e32 v9, v9, v10
	s_movk_i32 s6, 0x199a
	v_cmp_gt_u16_e32 vcc, s6, v9
	s_orn2_b64 s[6:7], vcc, exec
; %bb.25:
	s_or_b64 exec, exec, s[8:9]
	v_cmp_ne_u16_sdwa s[10:11], v3, v2 src0_sel:DWORD src1_sel:WORD_1
	s_and_saveexec_b64 s[8:9], s[10:11]
; %bb.26:
	s_movk_i32 s0, 0xcccd
	v_mov_b32_e32 v2, 0xffff999a
	v_mad_legacy_u16 v2, v1, s0, v2
	v_lshlrev_b16_e32 v9, 15, v2
	v_lshrrev_b16_e32 v2, 1, v2
	v_or_b32_e32 v2, v2, v9
	s_movk_i32 s0, 0x199a
	v_cmp_gt_u16_e32 vcc, s0, v2
	s_orn2_b64 s[0:1], vcc, exec
; %bb.27:
	s_or_b64 exec, exec, s[8:9]
	v_cmp_ne_u16_sdwa s[14:15], v3, v3 src0_sel:WORD_1 src1_sel:DWORD
	s_mov_b64 s[8:9], -1
	s_mov_b64 s[10:11], -1
	s_and_saveexec_b64 s[12:13], s[14:15]
; %bb.28:
	s_movk_i32 s10, 0xcccd
	v_mov_b32_e32 v2, 0x6667
	v_mad_legacy_u16 v2, v1, s10, v2
	v_lshlrev_b16_e32 v9, 15, v2
	v_lshrrev_b16_e32 v2, 1, v2
	v_or_b32_e32 v2, v2, v9
	s_movk_i32 s10, 0x199a
	v_cmp_gt_u16_e32 vcc, s10, v2
	s_orn2_b64 s[10:11], vcc, exec
; %bb.29:
	s_or_b64 exec, exec, s[12:13]
	v_cmp_ne_u16_sdwa s[14:15], v4, v3 src0_sel:DWORD src1_sel:WORD_1
	s_and_saveexec_b64 s[12:13], s[14:15]
; %bb.30:
	s_movk_i32 s8, 0xcccd
	v_mov_b32_e32 v2, 0x3334
	v_mad_legacy_u16 v2, v1, s8, v2
	v_lshlrev_b16_e32 v3, 15, v2
	v_lshrrev_b16_e32 v2, 1, v2
	v_or_b32_e32 v2, v2, v3
	s_movk_i32 s8, 0x199a
	v_cmp_gt_u16_e32 vcc, s8, v2
	s_orn2_b64 s[8:9], vcc, exec
; %bb.31:
	s_or_b64 exec, exec, s[12:13]
	v_cmp_ne_u16_sdwa s[18:19], v4, v4 src0_sel:WORD_1 src1_sel:DWORD
	s_mov_b64 s[12:13], -1
	s_mov_b64 s[14:15], -1
	s_and_saveexec_b64 s[16:17], s[18:19]
; %bb.32:
	s_movk_i32 s14, 0xcccd
	v_mad_legacy_u16 v2, v1, s14, 1
	v_lshlrev_b16_e32 v3, 15, v2
	v_lshrrev_b16_e32 v2, 1, v2
	v_or_b32_e32 v2, v2, v3
	s_movk_i32 s14, 0x199a
	v_cmp_gt_u16_e32 vcc, s14, v2
	s_orn2_b64 s[14:15], vcc, exec
; %bb.33:
	s_or_b64 exec, exec, s[16:17]
	v_cmp_ne_u16_sdwa s[18:19], v5, v4 src0_sel:DWORD src1_sel:WORD_1
	s_and_saveexec_b64 s[16:17], s[18:19]
; %bb.34:
	s_movk_i32 s12, 0xcccd
	v_mov_b32_e32 v2, 0xffffccce
	v_mad_legacy_u16 v2, v1, s12, v2
	v_lshlrev_b16_e32 v3, 15, v2
	v_lshrrev_b16_e32 v2, 1, v2
	v_or_b32_e32 v2, v2, v3
	s_movk_i32 s12, 0x199a
	v_cmp_gt_u16_e32 vcc, s12, v2
	s_orn2_b64 s[12:13], vcc, exec
; %bb.35:
	s_or_b64 exec, exec, s[16:17]
	v_cmp_ne_u16_sdwa s[22:23], v5, v5 src0_sel:WORD_1 src1_sel:DWORD
	s_mov_b64 s[16:17], -1
	s_mov_b64 s[18:19], -1
	s_and_saveexec_b64 s[20:21], s[22:23]
; %bb.36:
	s_movk_i32 s18, 0xcccd
	v_mov_b32_e32 v2, 0xffff999b
	v_mad_legacy_u16 v2, v1, s18, v2
	v_lshlrev_b16_e32 v3, 15, v2
	v_lshrrev_b16_e32 v2, 1, v2
	v_or_b32_e32 v2, v2, v3
	s_movk_i32 s18, 0x199a
	v_cmp_gt_u16_e32 vcc, s18, v2
	s_orn2_b64 s[18:19], vcc, exec
; %bb.37:
	s_or_b64 exec, exec, s[20:21]
	s_waitcnt vmcnt(1)
	v_cmp_ne_u16_sdwa s[22:23], v6, v5 src0_sel:DWORD src1_sel:WORD_1
	s_and_saveexec_b64 s[20:21], s[22:23]
; %bb.38:
	s_movk_i32 s16, 0xcccd
	v_mov_b32_e32 v2, 0x6668
	v_mad_legacy_u16 v2, v1, s16, v2
	v_lshlrev_b16_e32 v3, 15, v2
	v_lshrrev_b16_e32 v2, 1, v2
	v_or_b32_e32 v2, v2, v3
	s_movk_i32 s16, 0x199a
	v_cmp_gt_u16_e32 vcc, s16, v2
	s_orn2_b64 s[16:17], vcc, exec
; %bb.39:
	s_or_b64 exec, exec, s[20:21]
	s_movk_i32 s20, 0xe9
	v_cmp_ne_u32_e32 vcc, s20, v0
	s_waitcnt lgkmcnt(0)
	s_barrier
	s_and_saveexec_b64 s[20:21], vcc
	s_cbranch_execz .LBB24_41
; %bb.40:
	s_waitcnt vmcnt(0)
	ds_read_u16 v8, v7 offset:470
.LBB24_41:
	s_or_b64 exec, exec, s[20:21]
	s_waitcnt vmcnt(0) lgkmcnt(0)
	v_cmp_ne_u16_e32 vcc, v8, v6
	s_mov_b64 s[20:21], -1
	s_and_saveexec_b64 s[22:23], vcc
; %bb.42:
	s_movk_i32 s20, 0xcccd
	v_mov_b32_e32 v0, 0x3335
	v_mad_legacy_u16 v0, v1, s20, v0
	v_lshlrev_b16_e32 v2, 15, v0
	v_lshrrev_b16_e32 v0, 1, v0
	v_or_b32_e32 v0, v0, v2
	s_movk_i32 s20, 0x199a
	v_cmp_gt_u16_e32 vcc, s20, v0
	s_orn2_b64 s[20:21], vcc, exec
; %bb.43:
	s_or_b64 exec, exec, s[22:23]
	v_cndmask_b32_e64 v2, 0, 1, s[0:1]
	v_cndmask_b32_e64 v0, 0, 1, s[6:7]
	v_cndmask_b32_e64 v4, 0, 1, s[8:9]
	v_lshlrev_b16_e32 v2, 8, v2
	v_cndmask_b32_e64 v3, 0, 1, s[10:11]
	v_or_b32_e32 v0, v0, v2
	v_lshlrev_b16_e32 v2, 8, v4
	v_cndmask_b32_e64 v6, 0, 1, s[12:13]
	v_cndmask_b32_e64 v8, 0, 1, s[16:17]
	v_or_b32_sdwa v2, v3, v2 dst_sel:WORD_1 dst_unused:UNUSED_PAD src0_sel:DWORD src1_sel:DWORD
	v_cndmask_b32_e64 v5, 0, 1, s[14:15]
	v_cndmask_b32_e64 v7, 0, 1, s[18:19]
	v_or_b32_sdwa v9, v0, v2 dst_sel:DWORD dst_unused:UNUSED_PAD src0_sel:WORD_0 src1_sel:DWORD
	v_lshlrev_b16_e32 v0, 8, v6
	v_lshlrev_b16_e32 v2, 8, v8
	v_or_b32_e32 v0, v5, v0
	v_or_b32_sdwa v2, v7, v2 dst_sel:WORD_1 dst_unused:UNUSED_PAD src0_sel:DWORD src1_sel:DWORD
	v_cndmask_b32_e64 v10, 0, 1, s[20:21]
	v_or_b32_sdwa v8, v0, v2 dst_sel:DWORD dst_unused:UNUSED_PAD src0_sel:WORD_0 src1_sel:DWORD
.LBB24_44:
	s_lshl_b64 s[0:1], s[4:5], 3
	s_add_u32 s0, s2, s0
	v_lshlrev_b32_e32 v4, 3, v1
	v_mov_b32_e32 v1, 0
	s_addc_u32 s1, s3, s1
	v_and_b32_e32 v0, 0xff, v9
	v_bfe_u32 v2, v9, 8, 8
	v_mov_b32_e32 v3, v1
	global_store_dwordx4 v4, v[0:3], s[0:1]
	s_nop 0
	v_lshrrev_b32_e32 v2, 24, v9
	v_bfe_u32 v0, v9, 16, 8
	global_store_dwordx4 v4, v[0:3], s[0:1] offset:16
	s_nop 0
	v_and_b32_e32 v0, 0xff, v8
	v_bfe_u32 v2, v8, 8, 8
	global_store_dwordx4 v4, v[0:3], s[0:1] offset:32
	s_nop 0
	v_lshrrev_b32_e32 v2, 24, v8
	v_bfe_u32 v0, v8, 16, 8
	global_store_dwordx4 v4, v[0:3], s[0:1] offset:48
	s_nop 0
	v_and_b32_e32 v0, 0xff, v10
	global_store_dwordx2 v4, v[0:1], s[0:1] offset:64
	s_endpgm
	.section	.rodata,"a",@progbits
	.p2align	6, 0x0
	.amdhsa_kernel _Z17flag_tails_kernelIsb15custom_flag_op1IsELj234ELj9EEvPT_Px
		.amdhsa_group_segment_fixed_size 936
		.amdhsa_private_segment_fixed_size 0
		.amdhsa_kernarg_size 16
		.amdhsa_user_sgpr_count 6
		.amdhsa_user_sgpr_private_segment_buffer 1
		.amdhsa_user_sgpr_dispatch_ptr 0
		.amdhsa_user_sgpr_queue_ptr 0
		.amdhsa_user_sgpr_kernarg_segment_ptr 1
		.amdhsa_user_sgpr_dispatch_id 0
		.amdhsa_user_sgpr_flat_scratch_init 0
		.amdhsa_user_sgpr_kernarg_preload_length 0
		.amdhsa_user_sgpr_kernarg_preload_offset 0
		.amdhsa_user_sgpr_private_segment_size 0
		.amdhsa_uses_dynamic_stack 0
		.amdhsa_system_sgpr_private_segment_wavefront_offset 0
		.amdhsa_system_sgpr_workgroup_id_x 1
		.amdhsa_system_sgpr_workgroup_id_y 0
		.amdhsa_system_sgpr_workgroup_id_z 0
		.amdhsa_system_sgpr_workgroup_info 0
		.amdhsa_system_vgpr_workitem_id 0
		.amdhsa_next_free_vgpr 16
		.amdhsa_next_free_sgpr 26
		.amdhsa_accum_offset 16
		.amdhsa_reserve_vcc 1
		.amdhsa_reserve_flat_scratch 0
		.amdhsa_float_round_mode_32 0
		.amdhsa_float_round_mode_16_64 0
		.amdhsa_float_denorm_mode_32 3
		.amdhsa_float_denorm_mode_16_64 3
		.amdhsa_dx10_clamp 1
		.amdhsa_ieee_mode 1
		.amdhsa_fp16_overflow 0
		.amdhsa_tg_split 0
		.amdhsa_exception_fp_ieee_invalid_op 0
		.amdhsa_exception_fp_denorm_src 0
		.amdhsa_exception_fp_ieee_div_zero 0
		.amdhsa_exception_fp_ieee_overflow 0
		.amdhsa_exception_fp_ieee_underflow 0
		.amdhsa_exception_fp_ieee_inexact 0
		.amdhsa_exception_int_div_zero 0
	.end_amdhsa_kernel
	.section	.text._Z17flag_tails_kernelIsb15custom_flag_op1IsELj234ELj9EEvPT_Px,"axG",@progbits,_Z17flag_tails_kernelIsb15custom_flag_op1IsELj234ELj9EEvPT_Px,comdat
.Lfunc_end24:
	.size	_Z17flag_tails_kernelIsb15custom_flag_op1IsELj234ELj9EEvPT_Px, .Lfunc_end24-_Z17flag_tails_kernelIsb15custom_flag_op1IsELj234ELj9EEvPT_Px
                                        ; -- End function
	.section	.AMDGPU.csdata,"",@progbits
; Kernel info:
; codeLenInByte = 1756
; NumSgprs: 30
; NumVgprs: 16
; NumAgprs: 0
; TotalNumVgprs: 16
; ScratchSize: 0
; MemoryBound: 0
; FloatMode: 240
; IeeeMode: 1
; LDSByteSize: 936 bytes/workgroup (compile time only)
; SGPRBlocks: 3
; VGPRBlocks: 1
; NumSGPRsForWavesPerEU: 30
; NumVGPRsForWavesPerEU: 16
; AccumOffset: 16
; Occupancy: 8
; WaveLimiterHint : 0
; COMPUTE_PGM_RSRC2:SCRATCH_EN: 0
; COMPUTE_PGM_RSRC2:USER_SGPR: 6
; COMPUTE_PGM_RSRC2:TRAP_HANDLER: 0
; COMPUTE_PGM_RSRC2:TGID_X_EN: 1
; COMPUTE_PGM_RSRC2:TGID_Y_EN: 0
; COMPUTE_PGM_RSRC2:TGID_Z_EN: 0
; COMPUTE_PGM_RSRC2:TIDIG_COMP_CNT: 0
; COMPUTE_PGM_RSRC3_GFX90A:ACCUM_OFFSET: 3
; COMPUTE_PGM_RSRC3_GFX90A:TG_SPLIT: 0
	.section	.text._Z17flag_tails_kernelItiN10test_utils7greaterELj100ELj3EEvPT_Px,"axG",@progbits,_Z17flag_tails_kernelItiN10test_utils7greaterELj100ELj3EEvPT_Px,comdat
	.protected	_Z17flag_tails_kernelItiN10test_utils7greaterELj100ELj3EEvPT_Px ; -- Begin function _Z17flag_tails_kernelItiN10test_utils7greaterELj100ELj3EEvPT_Px
	.globl	_Z17flag_tails_kernelItiN10test_utils7greaterELj100ELj3EEvPT_Px
	.p2align	8
	.type	_Z17flag_tails_kernelItiN10test_utils7greaterELj100ELj3EEvPT_Px,@function
_Z17flag_tails_kernelItiN10test_utils7greaterELj100ELj3EEvPT_Px: ; @_Z17flag_tails_kernelItiN10test_utils7greaterELj100ELj3EEvPT_Px
; %bb.0:
	s_load_dwordx4 s[0:3], s[4:5], 0x0
	s_mul_i32 s4, s6, 0x12c
	s_mov_b32 s5, 0
	s_lshl_b64 s[8:9], s[4:5], 1
	v_mul_u32_u24_e32 v1, 3, v0
	s_waitcnt lgkmcnt(0)
	s_add_u32 s8, s0, s8
	s_addc_u32 s9, s1, s9
	v_lshlrev_b32_e32 v2, 1, v1
	global_load_dword v5, v2, s[8:9]
	global_load_ushort v3, v2, s[8:9] offset:4
	s_bitcmp1_b32 s6, 0
	s_cselect_b64 s[6:7], -1, 0
	v_lshlrev_b32_e32 v7, 1, v0
	s_and_b64 vcc, exec, s[6:7]
	s_waitcnt vmcnt(1)
	v_cmp_gt_u16_sdwa s[6:7], v5, v5 src0_sel:WORD_1 src1_sel:DWORD
	s_waitcnt vmcnt(0)
	v_cmp_gt_u16_sdwa s[8:9], v3, v5 src0_sel:DWORD src1_sel:WORD_1
	s_cbranch_vccz .LBB25_4
; %bb.1:
	s_movk_i32 s10, 0x63
	v_cmp_ne_u32_e32 vcc, s10, v0
	v_mov_b32_e32 v6, 1
	ds_write_b16 v7, v5 offset:200
	s_waitcnt lgkmcnt(0)
	s_barrier
	s_and_saveexec_b64 s[10:11], vcc
	s_cbranch_execz .LBB25_3
; %bb.2:
	ds_read_u16 v2, v7 offset:202
	s_waitcnt lgkmcnt(0)
	v_cmp_gt_u16_e32 vcc, v2, v3
	v_cndmask_b32_e64 v6, 0, 1, vcc
.LBB25_3:
	s_or_b64 exec, exec, s[10:11]
	v_cndmask_b32_e64 v2, 0, 1, s[6:7]
	v_cndmask_b32_e64 v4, 0, 1, s[8:9]
	s_cbranch_execz .LBB25_5
	s_branch .LBB25_8
.LBB25_4:
                                        ; implicit-def: $vgpr6
                                        ; implicit-def: $vgpr4
.LBB25_5:
	s_add_i32 s6, s4, 0x12c
	s_mov_b32 s7, 0
	s_lshl_b64 s[6:7], s[6:7], 1
	s_add_u32 s0, s0, s6
	s_addc_u32 s1, s1, s7
	v_mov_b32_e32 v2, 0
	global_load_ushort v6, v2, s[0:1]
	s_movk_i32 s0, 0x63
	v_cmp_ne_u32_e32 vcc, s0, v0
	ds_write_b16 v7, v5 offset:200
	s_waitcnt lgkmcnt(0)
	s_barrier
	s_and_saveexec_b64 s[0:1], vcc
	s_cbranch_execz .LBB25_7
; %bb.6:
	s_waitcnt vmcnt(0)
	ds_read_u16 v6, v7 offset:202
.LBB25_7:
	s_or_b64 exec, exec, s[0:1]
	v_cmp_gt_u16_sdwa s[0:1], v5, v5 src0_sel:WORD_1 src1_sel:DWORD
	v_cndmask_b32_e64 v2, 0, 1, s[0:1]
	v_cmp_gt_u16_sdwa s[0:1], v3, v5 src0_sel:DWORD src1_sel:WORD_1
	s_waitcnt vmcnt(0) lgkmcnt(0)
	v_cmp_gt_u16_e32 vcc, v6, v3
	v_cndmask_b32_e64 v4, 0, 1, s[0:1]
	v_cndmask_b32_e64 v6, 0, 1, vcc
.LBB25_8:
	s_lshl_b64 s[0:1], s[4:5], 3
	s_add_u32 s0, s2, s0
	s_addc_u32 s1, s3, s1
	v_lshlrev_b32_e32 v0, 3, v1
	v_ashrrev_i32_e32 v3, 31, v2
	v_ashrrev_i32_e32 v5, 31, v4
	;; [unrolled: 1-line block ×3, first 2 shown]
	global_store_dwordx4 v0, v[2:5], s[0:1]
	global_store_dwordx2 v0, v[6:7], s[0:1] offset:16
	s_endpgm
	.section	.rodata,"a",@progbits
	.p2align	6, 0x0
	.amdhsa_kernel _Z17flag_tails_kernelItiN10test_utils7greaterELj100ELj3EEvPT_Px
		.amdhsa_group_segment_fixed_size 400
		.amdhsa_private_segment_fixed_size 0
		.amdhsa_kernarg_size 16
		.amdhsa_user_sgpr_count 6
		.amdhsa_user_sgpr_private_segment_buffer 1
		.amdhsa_user_sgpr_dispatch_ptr 0
		.amdhsa_user_sgpr_queue_ptr 0
		.amdhsa_user_sgpr_kernarg_segment_ptr 1
		.amdhsa_user_sgpr_dispatch_id 0
		.amdhsa_user_sgpr_flat_scratch_init 0
		.amdhsa_user_sgpr_kernarg_preload_length 0
		.amdhsa_user_sgpr_kernarg_preload_offset 0
		.amdhsa_user_sgpr_private_segment_size 0
		.amdhsa_uses_dynamic_stack 0
		.amdhsa_system_sgpr_private_segment_wavefront_offset 0
		.amdhsa_system_sgpr_workgroup_id_x 1
		.amdhsa_system_sgpr_workgroup_id_y 0
		.amdhsa_system_sgpr_workgroup_id_z 0
		.amdhsa_system_sgpr_workgroup_info 0
		.amdhsa_system_vgpr_workitem_id 0
		.amdhsa_next_free_vgpr 8
		.amdhsa_next_free_sgpr 12
		.amdhsa_accum_offset 8
		.amdhsa_reserve_vcc 1
		.amdhsa_reserve_flat_scratch 0
		.amdhsa_float_round_mode_32 0
		.amdhsa_float_round_mode_16_64 0
		.amdhsa_float_denorm_mode_32 3
		.amdhsa_float_denorm_mode_16_64 3
		.amdhsa_dx10_clamp 1
		.amdhsa_ieee_mode 1
		.amdhsa_fp16_overflow 0
		.amdhsa_tg_split 0
		.amdhsa_exception_fp_ieee_invalid_op 0
		.amdhsa_exception_fp_denorm_src 0
		.amdhsa_exception_fp_ieee_div_zero 0
		.amdhsa_exception_fp_ieee_overflow 0
		.amdhsa_exception_fp_ieee_underflow 0
		.amdhsa_exception_fp_ieee_inexact 0
		.amdhsa_exception_int_div_zero 0
	.end_amdhsa_kernel
	.section	.text._Z17flag_tails_kernelItiN10test_utils7greaterELj100ELj3EEvPT_Px,"axG",@progbits,_Z17flag_tails_kernelItiN10test_utils7greaterELj100ELj3EEvPT_Px,comdat
.Lfunc_end25:
	.size	_Z17flag_tails_kernelItiN10test_utils7greaterELj100ELj3EEvPT_Px, .Lfunc_end25-_Z17flag_tails_kernelItiN10test_utils7greaterELj100ELj3EEvPT_Px
                                        ; -- End function
	.section	.AMDGPU.csdata,"",@progbits
; Kernel info:
; codeLenInByte = 372
; NumSgprs: 16
; NumVgprs: 8
; NumAgprs: 0
; TotalNumVgprs: 8
; ScratchSize: 0
; MemoryBound: 0
; FloatMode: 240
; IeeeMode: 1
; LDSByteSize: 400 bytes/workgroup (compile time only)
; SGPRBlocks: 1
; VGPRBlocks: 0
; NumSGPRsForWavesPerEU: 16
; NumVGPRsForWavesPerEU: 8
; AccumOffset: 8
; Occupancy: 8
; WaveLimiterHint : 0
; COMPUTE_PGM_RSRC2:SCRATCH_EN: 0
; COMPUTE_PGM_RSRC2:USER_SGPR: 6
; COMPUTE_PGM_RSRC2:TRAP_HANDLER: 0
; COMPUTE_PGM_RSRC2:TGID_X_EN: 1
; COMPUTE_PGM_RSRC2:TGID_Y_EN: 0
; COMPUTE_PGM_RSRC2:TGID_Z_EN: 0
; COMPUTE_PGM_RSRC2:TIDIG_COMP_CNT: 0
; COMPUTE_PGM_RSRC3_GFX90A:ACCUM_OFFSET: 1
; COMPUTE_PGM_RSRC3_GFX90A:TG_SPLIT: 0
	.section	.text._Z17flag_tails_kernelI12hip_bfloat16iN10test_utils7greaterELj37ELj3EEvPT_Px,"axG",@progbits,_Z17flag_tails_kernelI12hip_bfloat16iN10test_utils7greaterELj37ELj3EEvPT_Px,comdat
	.protected	_Z17flag_tails_kernelI12hip_bfloat16iN10test_utils7greaterELj37ELj3EEvPT_Px ; -- Begin function _Z17flag_tails_kernelI12hip_bfloat16iN10test_utils7greaterELj37ELj3EEvPT_Px
	.globl	_Z17flag_tails_kernelI12hip_bfloat16iN10test_utils7greaterELj37ELj3EEvPT_Px
	.p2align	8
	.type	_Z17flag_tails_kernelI12hip_bfloat16iN10test_utils7greaterELj37ELj3EEvPT_Px,@function
_Z17flag_tails_kernelI12hip_bfloat16iN10test_utils7greaterELj37ELj3EEvPT_Px: ; @_Z17flag_tails_kernelI12hip_bfloat16iN10test_utils7greaterELj37ELj3EEvPT_Px
; %bb.0:
	s_load_dwordx4 s[8:11], s[4:5], 0x0
	s_mul_i32 s2, s6, 0x6f
	s_mov_b32 s3, 0
	s_lshl_b64 s[0:1], s[2:3], 1
	v_mul_u32_u24_e32 v1, 3, v0
	s_waitcnt lgkmcnt(0)
	s_add_u32 s0, s8, s0
	s_addc_u32 s1, s9, s1
	v_lshlrev_b32_e32 v2, 1, v1
	global_load_ushort v4, v2, s[0:1] offset:4
	global_load_dword v3, v2, s[0:1]
	s_bitcmp1_b32 s6, 0
	s_cselect_b64 s[4:5], -1, 0
	v_lshlrev_b32_e32 v8, 1, v0
	v_cmp_ne_u32_e64 s[0:1], 36, v0
	s_and_b64 vcc, exec, s[4:5]
	s_waitcnt vmcnt(1)
	v_lshlrev_b32_e32 v5, 16, v4
	s_waitcnt vmcnt(0)
	v_lshlrev_b32_e32 v7, 16, v3
	s_cbranch_vccz .LBB26_4
; %bb.1:
	v_and_b32_e32 v2, 0xffff0000, v3
	v_cmp_gt_f32_e32 vcc, v5, v2
	v_cndmask_b32_e64 v4, 0, 1, vcc
	v_cmp_gt_f32_e32 vcc, v2, v7
	v_cndmask_b32_e64 v2, 0, 1, vcc
	v_mov_b32_e32 v6, 1
	ds_write_b16 v8, v3 offset:74
	s_waitcnt lgkmcnt(0)
	; wave barrier
	s_waitcnt lgkmcnt(0)
	s_and_saveexec_b64 s[4:5], s[0:1]
	s_cbranch_execz .LBB26_3
; %bb.2:
	ds_read_u16 v6, v8 offset:76
	s_waitcnt lgkmcnt(0)
	v_lshlrev_b32_e32 v6, 16, v6
	v_cmp_lt_f32_e32 vcc, v5, v6
	v_cndmask_b32_e64 v6, 0, 1, vcc
.LBB26_3:
	s_or_b64 exec, exec, s[4:5]
	s_cbranch_execz .LBB26_5
	s_branch .LBB26_8
.LBB26_4:
                                        ; implicit-def: $vgpr6
                                        ; implicit-def: $vgpr4
.LBB26_5:
	s_add_i32 s0, s2, 0x6f
	s_mov_b32 s1, 0
	s_lshl_b64 s[0:1], s[0:1], 1
	s_add_u32 s0, s8, s0
	s_addc_u32 s1, s9, s1
	v_mov_b32_e32 v2, 0
	global_load_ushort v6, v2, s[0:1]
	v_cmp_ne_u32_e32 vcc, 36, v0
	ds_write_b16 v8, v3 offset:74
	s_waitcnt lgkmcnt(0)
	; wave barrier
	s_waitcnt lgkmcnt(0)
	s_and_saveexec_b64 s[0:1], vcc
	s_cbranch_execz .LBB26_7
; %bb.6:
	s_waitcnt vmcnt(0)
	ds_read_u16 v6, v8 offset:76
.LBB26_7:
	s_or_b64 exec, exec, s[0:1]
	v_and_b32_e32 v0, 0xffff0000, v3
	v_cmp_gt_f32_e32 vcc, v5, v0
	v_cndmask_b32_e64 v4, 0, 1, vcc
	v_cmp_gt_f32_e32 vcc, v0, v7
	s_waitcnt vmcnt(0) lgkmcnt(0)
	v_lshlrev_b32_e32 v0, 16, v6
	v_cndmask_b32_e64 v2, 0, 1, vcc
	v_cmp_lt_f32_e32 vcc, v5, v0
	v_cndmask_b32_e64 v6, 0, 1, vcc
.LBB26_8:
	s_lshl_b64 s[0:1], s[2:3], 3
	s_add_u32 s0, s10, s0
	s_addc_u32 s1, s11, s1
	v_lshlrev_b32_e32 v0, 3, v1
	v_ashrrev_i32_e32 v3, 31, v2
	v_ashrrev_i32_e32 v5, 31, v4
	;; [unrolled: 1-line block ×3, first 2 shown]
	global_store_dwordx4 v0, v[2:5], s[0:1]
	global_store_dwordx2 v0, v[6:7], s[0:1] offset:16
	s_endpgm
	.section	.rodata,"a",@progbits
	.p2align	6, 0x0
	.amdhsa_kernel _Z17flag_tails_kernelI12hip_bfloat16iN10test_utils7greaterELj37ELj3EEvPT_Px
		.amdhsa_group_segment_fixed_size 148
		.amdhsa_private_segment_fixed_size 0
		.amdhsa_kernarg_size 16
		.amdhsa_user_sgpr_count 6
		.amdhsa_user_sgpr_private_segment_buffer 1
		.amdhsa_user_sgpr_dispatch_ptr 0
		.amdhsa_user_sgpr_queue_ptr 0
		.amdhsa_user_sgpr_kernarg_segment_ptr 1
		.amdhsa_user_sgpr_dispatch_id 0
		.amdhsa_user_sgpr_flat_scratch_init 0
		.amdhsa_user_sgpr_kernarg_preload_length 0
		.amdhsa_user_sgpr_kernarg_preload_offset 0
		.amdhsa_user_sgpr_private_segment_size 0
		.amdhsa_uses_dynamic_stack 0
		.amdhsa_system_sgpr_private_segment_wavefront_offset 0
		.amdhsa_system_sgpr_workgroup_id_x 1
		.amdhsa_system_sgpr_workgroup_id_y 0
		.amdhsa_system_sgpr_workgroup_id_z 0
		.amdhsa_system_sgpr_workgroup_info 0
		.amdhsa_system_vgpr_workitem_id 0
		.amdhsa_next_free_vgpr 9
		.amdhsa_next_free_sgpr 12
		.amdhsa_accum_offset 12
		.amdhsa_reserve_vcc 1
		.amdhsa_reserve_flat_scratch 0
		.amdhsa_float_round_mode_32 0
		.amdhsa_float_round_mode_16_64 0
		.amdhsa_float_denorm_mode_32 3
		.amdhsa_float_denorm_mode_16_64 3
		.amdhsa_dx10_clamp 1
		.amdhsa_ieee_mode 1
		.amdhsa_fp16_overflow 0
		.amdhsa_tg_split 0
		.amdhsa_exception_fp_ieee_invalid_op 0
		.amdhsa_exception_fp_denorm_src 0
		.amdhsa_exception_fp_ieee_div_zero 0
		.amdhsa_exception_fp_ieee_overflow 0
		.amdhsa_exception_fp_ieee_underflow 0
		.amdhsa_exception_fp_ieee_inexact 0
		.amdhsa_exception_int_div_zero 0
	.end_amdhsa_kernel
	.section	.text._Z17flag_tails_kernelI12hip_bfloat16iN10test_utils7greaterELj37ELj3EEvPT_Px,"axG",@progbits,_Z17flag_tails_kernelI12hip_bfloat16iN10test_utils7greaterELj37ELj3EEvPT_Px,comdat
.Lfunc_end26:
	.size	_Z17flag_tails_kernelI12hip_bfloat16iN10test_utils7greaterELj37ELj3EEvPT_Px, .Lfunc_end26-_Z17flag_tails_kernelI12hip_bfloat16iN10test_utils7greaterELj37ELj3EEvPT_Px
                                        ; -- End function
	.section	.AMDGPU.csdata,"",@progbits
; Kernel info:
; codeLenInByte = 384
; NumSgprs: 16
; NumVgprs: 9
; NumAgprs: 0
; TotalNumVgprs: 9
; ScratchSize: 0
; MemoryBound: 0
; FloatMode: 240
; IeeeMode: 1
; LDSByteSize: 148 bytes/workgroup (compile time only)
; SGPRBlocks: 1
; VGPRBlocks: 1
; NumSGPRsForWavesPerEU: 16
; NumVGPRsForWavesPerEU: 9
; AccumOffset: 12
; Occupancy: 8
; WaveLimiterHint : 0
; COMPUTE_PGM_RSRC2:SCRATCH_EN: 0
; COMPUTE_PGM_RSRC2:USER_SGPR: 6
; COMPUTE_PGM_RSRC2:TRAP_HANDLER: 0
; COMPUTE_PGM_RSRC2:TGID_X_EN: 1
; COMPUTE_PGM_RSRC2:TGID_Y_EN: 0
; COMPUTE_PGM_RSRC2:TGID_Z_EN: 0
; COMPUTE_PGM_RSRC2:TIDIG_COMP_CNT: 0
; COMPUTE_PGM_RSRC3_GFX90A:ACCUM_OFFSET: 2
; COMPUTE_PGM_RSRC3_GFX90A:TG_SPLIT: 0
	.section	.text._Z17flag_tails_kernelI6__halfiN10test_utils7greaterELj37ELj5EEvPT_Px,"axG",@progbits,_Z17flag_tails_kernelI6__halfiN10test_utils7greaterELj37ELj5EEvPT_Px,comdat
	.protected	_Z17flag_tails_kernelI6__halfiN10test_utils7greaterELj37ELj5EEvPT_Px ; -- Begin function _Z17flag_tails_kernelI6__halfiN10test_utils7greaterELj37ELj5EEvPT_Px
	.globl	_Z17flag_tails_kernelI6__halfiN10test_utils7greaterELj37ELj5EEvPT_Px
	.p2align	8
	.type	_Z17flag_tails_kernelI6__halfiN10test_utils7greaterELj37ELj5EEvPT_Px,@function
_Z17flag_tails_kernelI6__halfiN10test_utils7greaterELj37ELj5EEvPT_Px: ; @_Z17flag_tails_kernelI6__halfiN10test_utils7greaterELj37ELj5EEvPT_Px
; %bb.0:
	s_load_dwordx4 s[8:11], s[4:5], 0x0
	s_mul_i32 s4, s6, 0xb9
	s_mov_b32 s5, 0
	s_lshl_b64 s[0:1], s[4:5], 1
	v_mul_u32_u24_e32 v1, 5, v0
	s_waitcnt lgkmcnt(0)
	s_add_u32 s0, s8, s0
	s_addc_u32 s1, s9, s1
	v_lshlrev_b32_e32 v2, 1, v1
	global_load_dwordx2 v[10:11], v2, s[0:1]
	global_load_ushort v3, v2, s[0:1] offset:8
	s_bitcmp1_b32 s6, 0
	s_cselect_b64 s[2:3], -1, 0
	v_lshlrev_b32_e32 v7, 1, v0
	v_cmp_ne_u32_e64 s[0:1], 36, v0
	s_and_b64 vcc, exec, s[2:3]
	s_waitcnt vmcnt(1)
	v_alignbit_b32 v5, v11, v10, 16
	s_waitcnt vmcnt(0)
	v_alignbit_b32 v3, v3, v11, 16
	v_cmp_gt_f16_sdwa s[6:7], v5, v5 src0_sel:WORD_1 src1_sel:DWORD
	v_cmp_gt_f16_e64 s[2:3], v5, v10
	v_cmp_gt_f16_sdwa s[12:13], v3, v5 src0_sel:DWORD src1_sel:WORD_1
	v_cmp_gt_f16_sdwa s[14:15], v3, v3 src0_sel:WORD_1 src1_sel:DWORD
	s_cbranch_vccz .LBB27_4
; %bb.1:
	v_cndmask_b32_e64 v6, 0, 1, s[2:3]
	v_cndmask_b32_e64 v8, 0, 1, s[6:7]
	;; [unrolled: 1-line block ×4, first 2 shown]
	v_mov_b32_e32 v12, 1
	ds_write_b16 v7, v10 offset:74
	s_waitcnt lgkmcnt(0)
	; wave barrier
	s_waitcnt lgkmcnt(0)
	s_and_saveexec_b64 s[2:3], s[0:1]
	s_cbranch_execz .LBB27_3
; %bb.2:
	ds_read_u16 v9, v7 offset:76
	s_waitcnt lgkmcnt(0)
	v_cmp_gt_f16_sdwa s[0:1], v9, v3 src0_sel:DWORD src1_sel:WORD_1
	v_cndmask_b32_e64 v12, 0, 1, s[0:1]
.LBB27_3:
	s_or_b64 exec, exec, s[2:3]
	s_cbranch_execz .LBB27_5
	s_branch .LBB27_8
.LBB27_4:
                                        ; implicit-def: $vgpr12
                                        ; implicit-def: $vgpr4
                                        ; implicit-def: $vgpr8
.LBB27_5:
	s_add_i32 s0, s4, 0xb9
	s_mov_b32 s1, 0
	s_lshl_b64 s[0:1], s[0:1], 1
	s_add_u32 s0, s8, s0
	s_addc_u32 s1, s9, s1
	v_mov_b32_e32 v2, 0
	global_load_ushort v9, v2, s[0:1]
	v_cmp_ne_u32_e32 vcc, 36, v0
	ds_write_b16 v7, v10 offset:74
	s_waitcnt lgkmcnt(0)
	; wave barrier
	s_waitcnt lgkmcnt(0)
	s_and_saveexec_b64 s[0:1], vcc
	s_cbranch_execz .LBB27_7
; %bb.6:
	s_waitcnt vmcnt(0)
	ds_read_u16 v9, v7 offset:76
.LBB27_7:
	s_or_b64 exec, exec, s[0:1]
	v_cmp_gt_f16_sdwa s[0:1], v5, v5 src0_sel:WORD_1 src1_sel:DWORD
	v_cndmask_b32_e64 v8, 0, 1, s[0:1]
	v_cmp_gt_f16_sdwa s[0:1], v3, v5 src0_sel:DWORD src1_sel:WORD_1
	v_cndmask_b32_e64 v2, 0, 1, s[0:1]
	v_cmp_gt_f16_sdwa s[0:1], v3, v3 src0_sel:WORD_1 src1_sel:DWORD
	v_cmp_gt_f16_e32 vcc, v5, v10
	v_cndmask_b32_e64 v4, 0, 1, s[0:1]
	s_waitcnt vmcnt(0) lgkmcnt(0)
	v_cmp_lt_f16_sdwa s[0:1], v3, v9 src0_sel:WORD_1 src1_sel:DWORD
	v_cndmask_b32_e64 v6, 0, 1, vcc
	v_cndmask_b32_e64 v12, 0, 1, s[0:1]
.LBB27_8:
	s_lshl_b64 s[0:1], s[4:5], 3
	s_add_u32 s0, s10, s0
	s_addc_u32 s1, s11, s1
	v_lshlrev_b32_e32 v0, 3, v1
	v_ashrrev_i32_e32 v7, 31, v6
	v_ashrrev_i32_e32 v9, 31, v8
	;; [unrolled: 1-line block ×5, first 2 shown]
	global_store_dwordx4 v0, v[6:9], s[0:1]
	global_store_dwordx4 v0, v[2:5], s[0:1] offset:16
	global_store_dwordx2 v0, v[12:13], s[0:1] offset:32
	s_endpgm
	.section	.rodata,"a",@progbits
	.p2align	6, 0x0
	.amdhsa_kernel _Z17flag_tails_kernelI6__halfiN10test_utils7greaterELj37ELj5EEvPT_Px
		.amdhsa_group_segment_fixed_size 148
		.amdhsa_private_segment_fixed_size 0
		.amdhsa_kernarg_size 16
		.amdhsa_user_sgpr_count 6
		.amdhsa_user_sgpr_private_segment_buffer 1
		.amdhsa_user_sgpr_dispatch_ptr 0
		.amdhsa_user_sgpr_queue_ptr 0
		.amdhsa_user_sgpr_kernarg_segment_ptr 1
		.amdhsa_user_sgpr_dispatch_id 0
		.amdhsa_user_sgpr_flat_scratch_init 0
		.amdhsa_user_sgpr_kernarg_preload_length 0
		.amdhsa_user_sgpr_kernarg_preload_offset 0
		.amdhsa_user_sgpr_private_segment_size 0
		.amdhsa_uses_dynamic_stack 0
		.amdhsa_system_sgpr_private_segment_wavefront_offset 0
		.amdhsa_system_sgpr_workgroup_id_x 1
		.amdhsa_system_sgpr_workgroup_id_y 0
		.amdhsa_system_sgpr_workgroup_id_z 0
		.amdhsa_system_sgpr_workgroup_info 0
		.amdhsa_system_vgpr_workitem_id 0
		.amdhsa_next_free_vgpr 14
		.amdhsa_next_free_sgpr 16
		.amdhsa_accum_offset 16
		.amdhsa_reserve_vcc 1
		.amdhsa_reserve_flat_scratch 0
		.amdhsa_float_round_mode_32 0
		.amdhsa_float_round_mode_16_64 0
		.amdhsa_float_denorm_mode_32 3
		.amdhsa_float_denorm_mode_16_64 3
		.amdhsa_dx10_clamp 1
		.amdhsa_ieee_mode 1
		.amdhsa_fp16_overflow 0
		.amdhsa_tg_split 0
		.amdhsa_exception_fp_ieee_invalid_op 0
		.amdhsa_exception_fp_denorm_src 0
		.amdhsa_exception_fp_ieee_div_zero 0
		.amdhsa_exception_fp_ieee_overflow 0
		.amdhsa_exception_fp_ieee_underflow 0
		.amdhsa_exception_fp_ieee_inexact 0
		.amdhsa_exception_int_div_zero 0
	.end_amdhsa_kernel
	.section	.text._Z17flag_tails_kernelI6__halfiN10test_utils7greaterELj37ELj5EEvPT_Px,"axG",@progbits,_Z17flag_tails_kernelI6__halfiN10test_utils7greaterELj37ELj5EEvPT_Px,comdat
.Lfunc_end27:
	.size	_Z17flag_tails_kernelI6__halfiN10test_utils7greaterELj37ELj5EEvPT_Px, .Lfunc_end27-_Z17flag_tails_kernelI6__halfiN10test_utils7greaterELj37ELj5EEvPT_Px
                                        ; -- End function
	.section	.AMDGPU.csdata,"",@progbits
; Kernel info:
; codeLenInByte = 468
; NumSgprs: 20
; NumVgprs: 14
; NumAgprs: 0
; TotalNumVgprs: 14
; ScratchSize: 0
; MemoryBound: 0
; FloatMode: 240
; IeeeMode: 1
; LDSByteSize: 148 bytes/workgroup (compile time only)
; SGPRBlocks: 2
; VGPRBlocks: 1
; NumSGPRsForWavesPerEU: 20
; NumVGPRsForWavesPerEU: 14
; AccumOffset: 16
; Occupancy: 8
; WaveLimiterHint : 0
; COMPUTE_PGM_RSRC2:SCRATCH_EN: 0
; COMPUTE_PGM_RSRC2:USER_SGPR: 6
; COMPUTE_PGM_RSRC2:TRAP_HANDLER: 0
; COMPUTE_PGM_RSRC2:TGID_X_EN: 1
; COMPUTE_PGM_RSRC2:TGID_Y_EN: 0
; COMPUTE_PGM_RSRC2:TGID_Z_EN: 0
; COMPUTE_PGM_RSRC2:TIDIG_COMP_CNT: 0
; COMPUTE_PGM_RSRC3_GFX90A:ACCUM_OFFSET: 3
; COMPUTE_PGM_RSRC3_GFX90A:TG_SPLIT: 0
	.section	.text._Z17flag_tails_kernelIdjN6hipcub8EqualityELj464ELj2EEvPT_Px,"axG",@progbits,_Z17flag_tails_kernelIdjN6hipcub8EqualityELj464ELj2EEvPT_Px,comdat
	.protected	_Z17flag_tails_kernelIdjN6hipcub8EqualityELj464ELj2EEvPT_Px ; -- Begin function _Z17flag_tails_kernelIdjN6hipcub8EqualityELj464ELj2EEvPT_Px
	.globl	_Z17flag_tails_kernelIdjN6hipcub8EqualityELj464ELj2EEvPT_Px
	.p2align	8
	.type	_Z17flag_tails_kernelIdjN6hipcub8EqualityELj464ELj2EEvPT_Px,@function
_Z17flag_tails_kernelIdjN6hipcub8EqualityELj464ELj2EEvPT_Px: ; @_Z17flag_tails_kernelIdjN6hipcub8EqualityELj464ELj2EEvPT_Px
; %bb.0:
	s_load_dwordx4 s[8:11], s[4:5], 0x0
	s_mul_i32 s4, s6, 0x3a0
	s_mov_b32 s5, 0
	s_lshl_b64 s[2:3], s[4:5], 3
	v_lshlrev_b32_e32 v1, 4, v0
	s_waitcnt lgkmcnt(0)
	s_add_u32 s0, s8, s2
	s_addc_u32 s1, s9, s3
	global_load_dwordx4 v[2:5], v1, s[0:1]
	s_bitcmp1_b32 s6, 0
	s_cselect_b64 s[0:1], -1, 0
	v_lshlrev_b32_e32 v7, 3, v0
	s_and_b64 vcc, exec, s[0:1]
	s_waitcnt vmcnt(0)
	v_cmp_eq_f64_e64 s[0:1], v[4:5], v[2:3]
	s_cbranch_vccz .LBB28_4
; %bb.1:
	s_movk_i32 s5, 0x1cf
	v_cmp_ne_u32_e32 vcc, s5, v0
	v_mov_b32_e32 v8, 1
	ds_write_b64 v7, v[2:3] offset:3712
	s_waitcnt lgkmcnt(0)
	s_barrier
	s_and_saveexec_b64 s[6:7], vcc
	s_cbranch_execz .LBB28_3
; %bb.2:
	ds_read_b64 v[8:9], v7 offset:3720
	s_waitcnt lgkmcnt(0)
	v_cmp_eq_f64_e32 vcc, v[8:9], v[4:5]
	v_cndmask_b32_e64 v8, 0, 1, vcc
.LBB28_3:
	s_or_b64 exec, exec, s[6:7]
	v_cndmask_b32_e64 v6, 0, 1, s[0:1]
	v_lshlrev_b32_e32 v9, 1, v0
	s_cbranch_execz .LBB28_5
	s_branch .LBB28_8
.LBB28_4:
                                        ; implicit-def: $vgpr8
	v_lshlrev_b32_e32 v9, 1, v0
.LBB28_5:
	s_add_i32 s0, s4, 0x3a0
	s_mov_b32 s1, 0
	s_lshl_b64 s[0:1], s[0:1], 3
	s_add_u32 s0, s8, s0
	s_addc_u32 s1, s9, s1
	s_load_dwordx2 s[0:1], s[0:1], 0x0
	s_movk_i32 s4, 0x1cf
	v_cmp_ne_u32_e32 vcc, s4, v0
	ds_write_b64 v7, v[2:3] offset:3712
	s_waitcnt lgkmcnt(0)
	v_pk_mov_b32 v[0:1], s[0:1], s[0:1] op_sel:[0,1]
	s_barrier
	s_and_saveexec_b64 s[0:1], vcc
	s_cbranch_execz .LBB28_7
; %bb.6:
	ds_read_b64 v[0:1], v7 offset:3720
.LBB28_7:
	s_or_b64 exec, exec, s[0:1]
	v_cmp_eq_f64_e32 vcc, v[4:5], v[2:3]
	v_cndmask_b32_e64 v6, 0, 1, vcc
	s_waitcnt lgkmcnt(0)
	v_cmp_eq_f64_e32 vcc, v[0:1], v[4:5]
	v_cndmask_b32_e64 v8, 0, 1, vcc
.LBB28_8:
	s_add_u32 s0, s10, s2
	v_mov_b32_e32 v7, 0
	s_addc_u32 s1, s11, s3
	v_lshlrev_b32_e32 v0, 3, v9
	v_mov_b32_e32 v9, v7
	global_store_dwordx4 v0, v[6:9], s[0:1]
	s_endpgm
	.section	.rodata,"a",@progbits
	.p2align	6, 0x0
	.amdhsa_kernel _Z17flag_tails_kernelIdjN6hipcub8EqualityELj464ELj2EEvPT_Px
		.amdhsa_group_segment_fixed_size 7424
		.amdhsa_private_segment_fixed_size 0
		.amdhsa_kernarg_size 16
		.amdhsa_user_sgpr_count 6
		.amdhsa_user_sgpr_private_segment_buffer 1
		.amdhsa_user_sgpr_dispatch_ptr 0
		.amdhsa_user_sgpr_queue_ptr 0
		.amdhsa_user_sgpr_kernarg_segment_ptr 1
		.amdhsa_user_sgpr_dispatch_id 0
		.amdhsa_user_sgpr_flat_scratch_init 0
		.amdhsa_user_sgpr_kernarg_preload_length 0
		.amdhsa_user_sgpr_kernarg_preload_offset 0
		.amdhsa_user_sgpr_private_segment_size 0
		.amdhsa_uses_dynamic_stack 0
		.amdhsa_system_sgpr_private_segment_wavefront_offset 0
		.amdhsa_system_sgpr_workgroup_id_x 1
		.amdhsa_system_sgpr_workgroup_id_y 0
		.amdhsa_system_sgpr_workgroup_id_z 0
		.amdhsa_system_sgpr_workgroup_info 0
		.amdhsa_system_vgpr_workitem_id 0
		.amdhsa_next_free_vgpr 10
		.amdhsa_next_free_sgpr 12
		.amdhsa_accum_offset 12
		.amdhsa_reserve_vcc 1
		.amdhsa_reserve_flat_scratch 0
		.amdhsa_float_round_mode_32 0
		.amdhsa_float_round_mode_16_64 0
		.amdhsa_float_denorm_mode_32 3
		.amdhsa_float_denorm_mode_16_64 3
		.amdhsa_dx10_clamp 1
		.amdhsa_ieee_mode 1
		.amdhsa_fp16_overflow 0
		.amdhsa_tg_split 0
		.amdhsa_exception_fp_ieee_invalid_op 0
		.amdhsa_exception_fp_denorm_src 0
		.amdhsa_exception_fp_ieee_div_zero 0
		.amdhsa_exception_fp_ieee_overflow 0
		.amdhsa_exception_fp_ieee_underflow 0
		.amdhsa_exception_fp_ieee_inexact 0
		.amdhsa_exception_int_div_zero 0
	.end_amdhsa_kernel
	.section	.text._Z17flag_tails_kernelIdjN6hipcub8EqualityELj464ELj2EEvPT_Px,"axG",@progbits,_Z17flag_tails_kernelIdjN6hipcub8EqualityELj464ELj2EEvPT_Px,comdat
.Lfunc_end28:
	.size	_Z17flag_tails_kernelIdjN6hipcub8EqualityELj464ELj2EEvPT_Px, .Lfunc_end28-_Z17flag_tails_kernelIdjN6hipcub8EqualityELj464ELj2EEvPT_Px
                                        ; -- End function
	.section	.AMDGPU.csdata,"",@progbits
; Kernel info:
; codeLenInByte = 312
; NumSgprs: 16
; NumVgprs: 10
; NumAgprs: 0
; TotalNumVgprs: 10
; ScratchSize: 0
; MemoryBound: 0
; FloatMode: 240
; IeeeMode: 1
; LDSByteSize: 7424 bytes/workgroup (compile time only)
; SGPRBlocks: 1
; VGPRBlocks: 1
; NumSGPRsForWavesPerEU: 16
; NumVGPRsForWavesPerEU: 10
; AccumOffset: 12
; Occupancy: 8
; WaveLimiterHint : 0
; COMPUTE_PGM_RSRC2:SCRATCH_EN: 0
; COMPUTE_PGM_RSRC2:USER_SGPR: 6
; COMPUTE_PGM_RSRC2:TRAP_HANDLER: 0
; COMPUTE_PGM_RSRC2:TGID_X_EN: 1
; COMPUTE_PGM_RSRC2:TGID_Y_EN: 0
; COMPUTE_PGM_RSRC2:TGID_Z_EN: 0
; COMPUTE_PGM_RSRC2:TIDIG_COMP_CNT: 0
; COMPUTE_PGM_RSRC3_GFX90A:ACCUM_OFFSET: 2
; COMPUTE_PGM_RSRC3_GFX90A:TG_SPLIT: 0
	.section	.text._Z17flag_tails_kernelIdi15custom_flag_op2IdELj33ELj5EEvPT_Px,"axG",@progbits,_Z17flag_tails_kernelIdi15custom_flag_op2IdELj33ELj5EEvPT_Px,comdat
	.protected	_Z17flag_tails_kernelIdi15custom_flag_op2IdELj33ELj5EEvPT_Px ; -- Begin function _Z17flag_tails_kernelIdi15custom_flag_op2IdELj33ELj5EEvPT_Px
	.globl	_Z17flag_tails_kernelIdi15custom_flag_op2IdELj33ELj5EEvPT_Px
	.p2align	8
	.type	_Z17flag_tails_kernelIdi15custom_flag_op2IdELj33ELj5EEvPT_Px,@function
_Z17flag_tails_kernelIdi15custom_flag_op2IdELj33ELj5EEvPT_Px: ; @_Z17flag_tails_kernelIdi15custom_flag_op2IdELj33ELj5EEvPT_Px
; %bb.0:
	s_load_dwordx4 s[8:11], s[4:5], 0x0
	s_mul_i32 s14, s6, 0xa5
	s_mov_b32 s15, 0
	s_lshl_b64 s[12:13], s[14:15], 3
	v_mul_u32_u24_e32 v1, 5, v0
	s_waitcnt lgkmcnt(0)
	s_add_u32 s0, s8, s12
	s_addc_u32 s1, s9, s13
	v_lshlrev_b32_e32 v22, 3, v1
	global_load_dwordx4 v[2:5], v22, s[0:1]
	global_load_dwordx4 v[8:11], v22, s[0:1] offset:16
	global_load_dwordx2 v[12:13], v22, s[0:1] offset:32
	s_bitcmp1_b32 s6, 0
	s_cselect_b64 s[2:3], -1, 0
	v_lshlrev_b32_e32 v7, 3, v0
	v_cmp_ne_u32_e64 s[0:1], 32, v0
	s_and_b64 vcc, exec, s[2:3]
	s_waitcnt vmcnt(2)
	v_mov_b32_e32 v18, v4
	v_mov_b32_e32 v19, v5
	s_waitcnt vmcnt(1)
	v_mov_b32_e32 v16, v8
	v_mov_b32_e32 v17, v9
	;; [unrolled: 1-line block ×4, first 2 shown]
	s_cbranch_vccz .LBB29_4
; %bb.1:
	s_mov_b32 s16, 0
	v_add_f64 v[4:5], v[18:19], -v[2:3]
	s_mov_b32 s17, 0x40140000
	v_cmp_lt_f64_e32 vcc, s[16:17], v[4:5]
	v_add_f64 v[4:5], v[16:17], -v[18:19]
	v_cmp_lt_f64_e64 s[2:3], s[16:17], v[4:5]
	v_add_f64 v[4:5], v[14:15], -v[16:17]
	v_cmp_lt_f64_e64 s[4:5], s[16:17], v[4:5]
	s_waitcnt vmcnt(0)
	v_add_f64 v[4:5], v[12:13], -v[14:15]
	v_cmp_lt_f64_e64 s[6:7], s[16:17], v[4:5]
	v_mov_b32_e32 v20, 1
	ds_write_b64 v7, v[2:3] offset:264
	s_waitcnt lgkmcnt(0)
	; wave barrier
	s_waitcnt lgkmcnt(0)
	s_and_saveexec_b64 s[18:19], s[0:1]
	s_cbranch_execz .LBB29_3
; %bb.2:
	ds_read_b64 v[4:5], v7 offset:272
	s_waitcnt lgkmcnt(0)
	v_add_f64 v[4:5], v[4:5], -v[12:13]
	v_cmp_lt_f64_e64 s[0:1], s[16:17], v[4:5]
	v_cndmask_b32_e64 v20, 0, 1, s[0:1]
.LBB29_3:
	s_or_b64 exec, exec, s[18:19]
	v_cndmask_b32_e64 v4, 0, 1, vcc
	v_cndmask_b32_e64 v6, 0, 1, s[2:3]
	v_cndmask_b32_e64 v8, 0, 1, s[4:5]
	;; [unrolled: 1-line block ×3, first 2 shown]
	s_cbranch_execz .LBB29_5
	s_branch .LBB29_8
.LBB29_4:
                                        ; implicit-def: $vgpr20
                                        ; implicit-def: $vgpr10
                                        ; implicit-def: $vgpr6
.LBB29_5:
	s_add_i32 s0, s14, 0xa5
	s_mov_b32 s1, 0
	s_lshl_b64 s[0:1], s[0:1], 3
	s_add_u32 s0, s8, s0
	s_addc_u32 s1, s9, s1
	s_load_dwordx2 s[0:1], s[0:1], 0x0
	v_cmp_ne_u32_e32 vcc, 32, v0
	ds_write_b64 v7, v[2:3] offset:264
	s_waitcnt lgkmcnt(0)
	; wave barrier
	s_waitcnt lgkmcnt(0)
	v_pk_mov_b32 v[0:1], s[0:1], s[0:1] op_sel:[0,1]
	s_and_saveexec_b64 s[0:1], vcc
	s_cbranch_execz .LBB29_7
; %bb.6:
	ds_read_b64 v[0:1], v7 offset:272
.LBB29_7:
	s_or_b64 exec, exec, s[0:1]
	s_mov_b32 s0, 0
	v_add_f64 v[4:5], v[16:17], -v[18:19]
	s_mov_b32 s1, 0x40140000
	v_add_f64 v[2:3], v[18:19], -v[2:3]
	v_cmp_lt_f64_e32 vcc, s[0:1], v[4:5]
	v_cndmask_b32_e64 v6, 0, 1, vcc
	v_cmp_lt_f64_e32 vcc, s[0:1], v[2:3]
	v_add_f64 v[2:3], v[14:15], -v[16:17]
	v_cndmask_b32_e64 v4, 0, 1, vcc
	s_waitcnt vmcnt(0)
	v_add_f64 v[10:11], v[12:13], -v[14:15]
	v_cmp_lt_f64_e32 vcc, s[0:1], v[2:3]
	v_cndmask_b32_e64 v8, 0, 1, vcc
	v_cmp_lt_f64_e32 vcc, s[0:1], v[10:11]
	s_waitcnt lgkmcnt(0)
	v_add_f64 v[0:1], v[0:1], -v[12:13]
	v_cndmask_b32_e64 v10, 0, 1, vcc
	v_cmp_lt_f64_e32 vcc, s[0:1], v[0:1]
	v_cndmask_b32_e64 v20, 0, 1, vcc
.LBB29_8:
	s_add_u32 s0, s10, s12
	s_addc_u32 s1, s11, s13
	v_ashrrev_i32_e32 v5, 31, v4
	v_ashrrev_i32_e32 v7, 31, v6
	;; [unrolled: 1-line block ×5, first 2 shown]
	global_store_dwordx4 v22, v[4:7], s[0:1]
	global_store_dwordx4 v22, v[8:11], s[0:1] offset:16
	global_store_dwordx2 v22, v[20:21], s[0:1] offset:32
	s_endpgm
	.section	.rodata,"a",@progbits
	.p2align	6, 0x0
	.amdhsa_kernel _Z17flag_tails_kernelIdi15custom_flag_op2IdELj33ELj5EEvPT_Px
		.amdhsa_group_segment_fixed_size 528
		.amdhsa_private_segment_fixed_size 0
		.amdhsa_kernarg_size 16
		.amdhsa_user_sgpr_count 6
		.amdhsa_user_sgpr_private_segment_buffer 1
		.amdhsa_user_sgpr_dispatch_ptr 0
		.amdhsa_user_sgpr_queue_ptr 0
		.amdhsa_user_sgpr_kernarg_segment_ptr 1
		.amdhsa_user_sgpr_dispatch_id 0
		.amdhsa_user_sgpr_flat_scratch_init 0
		.amdhsa_user_sgpr_kernarg_preload_length 0
		.amdhsa_user_sgpr_kernarg_preload_offset 0
		.amdhsa_user_sgpr_private_segment_size 0
		.amdhsa_uses_dynamic_stack 0
		.amdhsa_system_sgpr_private_segment_wavefront_offset 0
		.amdhsa_system_sgpr_workgroup_id_x 1
		.amdhsa_system_sgpr_workgroup_id_y 0
		.amdhsa_system_sgpr_workgroup_id_z 0
		.amdhsa_system_sgpr_workgroup_info 0
		.amdhsa_system_vgpr_workitem_id 0
		.amdhsa_next_free_vgpr 23
		.amdhsa_next_free_sgpr 20
		.amdhsa_accum_offset 24
		.amdhsa_reserve_vcc 1
		.amdhsa_reserve_flat_scratch 0
		.amdhsa_float_round_mode_32 0
		.amdhsa_float_round_mode_16_64 0
		.amdhsa_float_denorm_mode_32 3
		.amdhsa_float_denorm_mode_16_64 3
		.amdhsa_dx10_clamp 1
		.amdhsa_ieee_mode 1
		.amdhsa_fp16_overflow 0
		.amdhsa_tg_split 0
		.amdhsa_exception_fp_ieee_invalid_op 0
		.amdhsa_exception_fp_denorm_src 0
		.amdhsa_exception_fp_ieee_div_zero 0
		.amdhsa_exception_fp_ieee_overflow 0
		.amdhsa_exception_fp_ieee_underflow 0
		.amdhsa_exception_fp_ieee_inexact 0
		.amdhsa_exception_int_div_zero 0
	.end_amdhsa_kernel
	.section	.text._Z17flag_tails_kernelIdi15custom_flag_op2IdELj33ELj5EEvPT_Px,"axG",@progbits,_Z17flag_tails_kernelIdi15custom_flag_op2IdELj33ELj5EEvPT_Px,comdat
.Lfunc_end29:
	.size	_Z17flag_tails_kernelIdi15custom_flag_op2IdELj33ELj5EEvPT_Px, .Lfunc_end29-_Z17flag_tails_kernelIdi15custom_flag_op2IdELj33ELj5EEvPT_Px
                                        ; -- End function
	.section	.AMDGPU.csdata,"",@progbits
; Kernel info:
; codeLenInByte = 568
; NumSgprs: 24
; NumVgprs: 23
; NumAgprs: 0
; TotalNumVgprs: 23
; ScratchSize: 0
; MemoryBound: 0
; FloatMode: 240
; IeeeMode: 1
; LDSByteSize: 528 bytes/workgroup (compile time only)
; SGPRBlocks: 2
; VGPRBlocks: 2
; NumSGPRsForWavesPerEU: 24
; NumVGPRsForWavesPerEU: 23
; AccumOffset: 24
; Occupancy: 8
; WaveLimiterHint : 0
; COMPUTE_PGM_RSRC2:SCRATCH_EN: 0
; COMPUTE_PGM_RSRC2:USER_SGPR: 6
; COMPUTE_PGM_RSRC2:TRAP_HANDLER: 0
; COMPUTE_PGM_RSRC2:TGID_X_EN: 1
; COMPUTE_PGM_RSRC2:TGID_Y_EN: 0
; COMPUTE_PGM_RSRC2:TGID_Z_EN: 0
; COMPUTE_PGM_RSRC2:TIDIG_COMP_CNT: 0
; COMPUTE_PGM_RSRC3_GFX90A:ACCUM_OFFSET: 5
; COMPUTE_PGM_RSRC3_GFX90A:TG_SPLIT: 0
	.section	.text._Z17flag_tails_kernelIssN6hipcub8EqualityELj512ELj8EEvPT_Px,"axG",@progbits,_Z17flag_tails_kernelIssN6hipcub8EqualityELj512ELj8EEvPT_Px,comdat
	.protected	_Z17flag_tails_kernelIssN6hipcub8EqualityELj512ELj8EEvPT_Px ; -- Begin function _Z17flag_tails_kernelIssN6hipcub8EqualityELj512ELj8EEvPT_Px
	.globl	_Z17flag_tails_kernelIssN6hipcub8EqualityELj512ELj8EEvPT_Px
	.p2align	8
	.type	_Z17flag_tails_kernelIssN6hipcub8EqualityELj512ELj8EEvPT_Px,@function
_Z17flag_tails_kernelIssN6hipcub8EqualityELj512ELj8EEvPT_Px: ; @_Z17flag_tails_kernelIssN6hipcub8EqualityELj512ELj8EEvPT_Px
; %bb.0:
	s_load_dwordx4 s[8:11], s[4:5], 0x0
	s_lshl_b32 s2, s6, 12
	s_mov_b32 s3, 0
	s_lshl_b64 s[0:1], s[2:3], 1
	v_lshlrev_b32_e32 v1, 4, v0
	s_waitcnt lgkmcnt(0)
	s_add_u32 s0, s8, s0
	s_addc_u32 s1, s9, s1
	global_load_dwordx4 v[2:5], v1, s[0:1]
	s_bitcmp1_b32 s6, 0
	s_cselect_b64 s[0:1], -1, 0
	v_lshlrev_b32_e32 v7, 1, v0
	s_and_b64 vcc, exec, s[0:1]
	s_waitcnt vmcnt(0)
	v_alignbit_b32 v6, v3, v2, 16
	v_alignbit_b32 v3, v4, v3, 16
	;; [unrolled: 1-line block ×3, first 2 shown]
	v_cmp_eq_u16_e64 s[0:1], v6, v2
	v_cmp_eq_u16_sdwa s[4:5], v3, v3 src0_sel:WORD_1 src1_sel:DWORD
	v_cmp_eq_u16_sdwa s[12:13], v3, v6 src0_sel:DWORD src1_sel:WORD_1
	v_lshrrev_b32_e32 v4, 16, v1
	v_cmp_eq_u16_sdwa s[6:7], v1, v3 src0_sel:DWORD src1_sel:WORD_1
	s_cbranch_vccz .LBB30_4
; %bb.1:
	v_cmp_eq_u16_sdwa s[14:15], v5, v4 src0_sel:WORD_1 src1_sel:DWORD
	v_cndmask_b32_e64 v9, 0, 1, s[0:1]
	v_cmp_eq_u16_sdwa s[0:1], v6, v6 src0_sel:DWORD src1_sel:WORD_1
	v_cndmask_b32_e64 v8, 0, 1, s[14:15]
	v_cndmask_b32_e64 v10, 0, 1, s[0:1]
	s_mov_b32 s14, 0x5040100
	v_perm_b32 v11, v10, v9, s14
	v_cndmask_b32_e64 v9, 0, 1, s[12:13]
	v_cndmask_b32_e64 v10, 0, 1, s[4:5]
	v_cmp_eq_u16_e32 vcc, v4, v1
	v_perm_b32 v10, v10, v9, s14
	v_cndmask_b32_e64 v9, 0, 1, s[6:7]
	v_cndmask_b32_e64 v12, 0, 1, vcc
	v_perm_b32 v9, v12, v9, s14
	v_mov_b32_e32 v12, 0x5040100
	s_movk_i32 s0, 0x1ff
	v_perm_b32 v8, 1, v8, v12
	v_cmp_ne_u32_e32 vcc, s0, v0
	ds_write_b16 v7, v2 offset:1024
	s_waitcnt lgkmcnt(0)
	s_barrier
	s_and_saveexec_b64 s[0:1], vcc
	s_cbranch_execz .LBB30_3
; %bb.2:
	ds_read_u16 v12, v7 offset:1026
	s_waitcnt lgkmcnt(0)
	v_cmp_eq_u16_sdwa s[4:5], v12, v5 src0_sel:DWORD src1_sel:WORD_1
	v_cndmask_b32_e64 v12, 0, 1, s[4:5]
	v_perm_b32 v8, v12, v8, s14
.LBB30_3:
	s_or_b64 exec, exec, s[0:1]
	v_lshlrev_b32_e32 v12, 3, v0
	s_cbranch_execz .LBB30_5
	s_branch .LBB30_8
.LBB30_4:
                                        ; implicit-def: $vgpr8
                                        ; implicit-def: $vgpr9
                                        ; implicit-def: $vgpr10
                                        ; implicit-def: $vgpr11
	v_lshlrev_b32_e32 v12, 3, v0
.LBB30_5:
	s_or_b32 s0, s2, 0x1000
	s_mov_b32 s1, 0
	s_lshl_b64 s[0:1], s[0:1], 1
	s_add_u32 s0, s8, s0
	s_addc_u32 s1, s9, s1
	v_mov_b32_e32 v8, 0
	global_load_ushort v8, v8, s[0:1]
	s_movk_i32 s0, 0x1ff
	v_cmp_ne_u32_e32 vcc, s0, v0
	ds_write_b16 v7, v2 offset:1024
	s_waitcnt lgkmcnt(0)
	s_barrier
	s_and_saveexec_b64 s[0:1], vcc
	s_cbranch_execz .LBB30_7
; %bb.6:
	s_waitcnt vmcnt(0)
	ds_read_u16 v8, v7 offset:1026
.LBB30_7:
	s_or_b64 exec, exec, s[0:1]
	v_cmp_eq_u16_sdwa s[0:1], v6, v6 src0_sel:WORD_1 src1_sel:DWORD
	v_cmp_eq_u16_e32 vcc, v6, v2
	v_cndmask_b32_e64 v2, 0, 1, s[0:1]
	v_cmp_eq_u16_sdwa s[0:1], v3, v6 src0_sel:DWORD src1_sel:WORD_1
	v_cndmask_b32_e64 v6, 0, 1, s[0:1]
	v_cmp_eq_u16_sdwa s[0:1], v3, v3 src0_sel:WORD_1 src1_sel:DWORD
	v_cndmask_b32_e64 v7, 0, 1, s[0:1]
	v_cmp_eq_u16_sdwa s[0:1], v1, v3 src0_sel:DWORD src1_sel:WORD_1
	v_cndmask_b32_e64 v3, 0, 1, s[0:1]
	v_cmp_eq_u16_sdwa s[0:1], v5, v4 src0_sel:WORD_1 src1_sel:DWORD
	v_cndmask_b32_e64 v0, 0, 1, vcc
	v_cmp_eq_u16_e32 vcc, v4, v1
	v_cndmask_b32_e64 v4, 0, 1, s[0:1]
	s_waitcnt vmcnt(0) lgkmcnt(0)
	v_cmp_eq_u16_sdwa s[0:1], v8, v5 src0_sel:DWORD src1_sel:WORD_1
	v_cndmask_b32_e64 v1, 0, 1, vcc
	v_cndmask_b32_e64 v5, 0, 1, s[0:1]
	s_mov_b32 s0, 0x5040100
	v_perm_b32 v11, v2, v0, s0
	v_perm_b32 v10, v7, v6, s0
	;; [unrolled: 1-line block ×4, first 2 shown]
.LBB30_8:
	s_lshl_b64 s[0:1], s[2:3], 3
	v_lshrrev_b32_e32 v2, 16, v11
	s_add_u32 s0, s10, s0
	v_bfe_i32 v0, v11, 0, 16
	v_bfe_i32 v2, v2, 0, 16
	s_addc_u32 s1, s11, s1
	v_lshlrev_b32_e32 v4, 3, v12
	v_ashrrev_i32_e32 v1, 31, v0
	v_ashrrev_i32_e32 v3, 31, v2
	global_store_dwordx4 v4, v[0:3], s[0:1]
	s_nop 0
	v_lshrrev_b32_e32 v2, 16, v10
	v_bfe_i32 v0, v10, 0, 16
	v_bfe_i32 v2, v2, 0, 16
	v_ashrrev_i32_e32 v1, 31, v0
	v_ashrrev_i32_e32 v3, 31, v2
	global_store_dwordx4 v4, v[0:3], s[0:1] offset:16
	s_nop 0
	v_lshrrev_b32_e32 v2, 16, v9
	v_bfe_i32 v0, v9, 0, 16
	v_bfe_i32 v2, v2, 0, 16
	v_ashrrev_i32_e32 v1, 31, v0
	v_ashrrev_i32_e32 v3, 31, v2
	global_store_dwordx4 v4, v[0:3], s[0:1] offset:32
	;; [unrolled: 7-line block ×3, first 2 shown]
	s_endpgm
	.section	.rodata,"a",@progbits
	.p2align	6, 0x0
	.amdhsa_kernel _Z17flag_tails_kernelIssN6hipcub8EqualityELj512ELj8EEvPT_Px
		.amdhsa_group_segment_fixed_size 2048
		.amdhsa_private_segment_fixed_size 0
		.amdhsa_kernarg_size 16
		.amdhsa_user_sgpr_count 6
		.amdhsa_user_sgpr_private_segment_buffer 1
		.amdhsa_user_sgpr_dispatch_ptr 0
		.amdhsa_user_sgpr_queue_ptr 0
		.amdhsa_user_sgpr_kernarg_segment_ptr 1
		.amdhsa_user_sgpr_dispatch_id 0
		.amdhsa_user_sgpr_flat_scratch_init 0
		.amdhsa_user_sgpr_kernarg_preload_length 0
		.amdhsa_user_sgpr_kernarg_preload_offset 0
		.amdhsa_user_sgpr_private_segment_size 0
		.amdhsa_uses_dynamic_stack 0
		.amdhsa_system_sgpr_private_segment_wavefront_offset 0
		.amdhsa_system_sgpr_workgroup_id_x 1
		.amdhsa_system_sgpr_workgroup_id_y 0
		.amdhsa_system_sgpr_workgroup_id_z 0
		.amdhsa_system_sgpr_workgroup_info 0
		.amdhsa_system_vgpr_workitem_id 0
		.amdhsa_next_free_vgpr 13
		.amdhsa_next_free_sgpr 16
		.amdhsa_accum_offset 16
		.amdhsa_reserve_vcc 1
		.amdhsa_reserve_flat_scratch 0
		.amdhsa_float_round_mode_32 0
		.amdhsa_float_round_mode_16_64 0
		.amdhsa_float_denorm_mode_32 3
		.amdhsa_float_denorm_mode_16_64 3
		.amdhsa_dx10_clamp 1
		.amdhsa_ieee_mode 1
		.amdhsa_fp16_overflow 0
		.amdhsa_tg_split 0
		.amdhsa_exception_fp_ieee_invalid_op 0
		.amdhsa_exception_fp_denorm_src 0
		.amdhsa_exception_fp_ieee_div_zero 0
		.amdhsa_exception_fp_ieee_overflow 0
		.amdhsa_exception_fp_ieee_underflow 0
		.amdhsa_exception_fp_ieee_inexact 0
		.amdhsa_exception_int_div_zero 0
	.end_amdhsa_kernel
	.section	.text._Z17flag_tails_kernelIssN6hipcub8EqualityELj512ELj8EEvPT_Px,"axG",@progbits,_Z17flag_tails_kernelIssN6hipcub8EqualityELj512ELj8EEvPT_Px,comdat
.Lfunc_end30:
	.size	_Z17flag_tails_kernelIssN6hipcub8EqualityELj512ELj8EEvPT_Px, .Lfunc_end30-_Z17flag_tails_kernelIssN6hipcub8EqualityELj512ELj8EEvPT_Px
                                        ; -- End function
	.section	.AMDGPU.csdata,"",@progbits
; Kernel info:
; codeLenInByte = 764
; NumSgprs: 20
; NumVgprs: 13
; NumAgprs: 0
; TotalNumVgprs: 13
; ScratchSize: 0
; MemoryBound: 0
; FloatMode: 240
; IeeeMode: 1
; LDSByteSize: 2048 bytes/workgroup (compile time only)
; SGPRBlocks: 2
; VGPRBlocks: 1
; NumSGPRsForWavesPerEU: 20
; NumVGPRsForWavesPerEU: 13
; AccumOffset: 16
; Occupancy: 8
; WaveLimiterHint : 0
; COMPUTE_PGM_RSRC2:SCRATCH_EN: 0
; COMPUTE_PGM_RSRC2:USER_SGPR: 6
; COMPUTE_PGM_RSRC2:TRAP_HANDLER: 0
; COMPUTE_PGM_RSRC2:TGID_X_EN: 1
; COMPUTE_PGM_RSRC2:TGID_Y_EN: 0
; COMPUTE_PGM_RSRC2:TGID_Z_EN: 0
; COMPUTE_PGM_RSRC2:TIDIG_COMP_CNT: 0
; COMPUTE_PGM_RSRC3_GFX90A:ACCUM_OFFSET: 3
; COMPUTE_PGM_RSRC3_GFX90A:TG_SPLIT: 0
	.section	.text._Z17flag_tails_kernelIth15custom_flag_op2ItELj256ELj7EEvPT_Px,"axG",@progbits,_Z17flag_tails_kernelIth15custom_flag_op2ItELj256ELj7EEvPT_Px,comdat
	.protected	_Z17flag_tails_kernelIth15custom_flag_op2ItELj256ELj7EEvPT_Px ; -- Begin function _Z17flag_tails_kernelIth15custom_flag_op2ItELj256ELj7EEvPT_Px
	.globl	_Z17flag_tails_kernelIth15custom_flag_op2ItELj256ELj7EEvPT_Px
	.p2align	8
	.type	_Z17flag_tails_kernelIth15custom_flag_op2ItELj256ELj7EEvPT_Px,@function
_Z17flag_tails_kernelIth15custom_flag_op2ItELj256ELj7EEvPT_Px: ; @_Z17flag_tails_kernelIth15custom_flag_op2ItELj256ELj7EEvPT_Px
; %bb.0:
	s_load_dwordx4 s[12:15], s[4:5], 0x0
	s_mul_i32 s10, s6, 0x700
	s_mov_b32 s11, 0
	s_lshl_b64 s[0:1], s[10:11], 1
	v_mul_u32_u24_e32 v1, 7, v0
	s_waitcnt lgkmcnt(0)
	s_add_u32 s0, s12, s0
	s_addc_u32 s1, s13, s1
	v_lshlrev_b32_e32 v6, 1, v1
	global_load_dwordx3 v[2:4], v6, s[0:1]
	global_load_ushort v5, v6, s[0:1] offset:12
	s_bitcmp1_b32 s6, 0
	s_cselect_b64 s[0:1], -1, 0
	v_lshlrev_b32_e32 v10, 1, v0
	s_and_b64 vcc, exec, s[0:1]
	s_waitcnt vmcnt(1)
	v_sub_u32_sdwa v9, v3, v2 dst_sel:DWORD dst_unused:UNUSED_PAD src0_sel:WORD_0 src1_sel:WORD_1
	v_sub_u32_sdwa v8, v3, v3 dst_sel:DWORD dst_unused:UNUSED_PAD src0_sel:WORD_1 src1_sel:WORD_0
	v_sub_u32_sdwa v7, v4, v3 dst_sel:DWORD dst_unused:UNUSED_PAD src0_sel:WORD_0 src1_sel:WORD_1
	v_sub_u32_sdwa v6, v4, v4 dst_sel:DWORD dst_unused:UNUSED_PAD src0_sel:WORD_1 src1_sel:WORD_0
	s_waitcnt vmcnt(0)
	v_sub_u32_sdwa v3, v5, v4 dst_sel:DWORD dst_unused:UNUSED_PAD src0_sel:DWORD src1_sel:WORD_1
	v_cmp_lt_i32_e64 s[0:1], 5, v9
	v_cmp_lt_i32_e64 s[2:3], 5, v8
	;; [unrolled: 1-line block ×5, first 2 shown]
	s_cbranch_vccz .LBB31_4
; %bb.1:
	v_and_b32_e32 v4, 0xffff, v2
	v_sub_u32_sdwa v4, v2, v4 dst_sel:DWORD dst_unused:UNUSED_PAD src0_sel:WORD_1 src1_sel:DWORD
	v_cmp_lt_i32_e32 vcc, 5, v4
	v_cndmask_b32_e64 v13, 0, 1, s[0:1]
	v_cndmask_b32_e64 v12, 0, 1, vcc
	v_cndmask_b32_e64 v15, 0, 1, s[4:5]
	v_lshlrev_b16_e32 v13, 8, v13
	v_cndmask_b32_e64 v14, 0, 1, s[2:3]
	v_or_b32_e32 v12, v12, v13
	v_lshlrev_b16_e32 v13, 8, v15
	v_or_b32_sdwa v13, v14, v13 dst_sel:WORD_1 dst_unused:UNUSED_PAD src0_sel:DWORD src1_sel:DWORD
	s_movk_i32 s0, 0xff
	v_cndmask_b32_e64 v4, 0, 1, s[6:7]
	v_cndmask_b32_e64 v11, 0, 1, s[8:9]
	v_or_b32_sdwa v13, v12, v13 dst_sel:DWORD dst_unused:UNUSED_PAD src0_sel:WORD_0 src1_sel:DWORD
	v_cmp_ne_u32_e32 vcc, s0, v0
	v_mov_b32_e32 v12, 1
	ds_write_b16 v10, v2 offset:512
	s_waitcnt lgkmcnt(0)
	s_barrier
	s_and_saveexec_b64 s[0:1], vcc
	s_cbranch_execz .LBB31_3
; %bb.2:
	ds_read_u16 v12, v10 offset:514
	s_mov_b32 s2, 0x3020104
	v_perm_b32 v13, v13, v13, s2
	s_waitcnt lgkmcnt(0)
	v_sub_u32_e32 v12, v12, v5
	v_cmp_lt_i32_e32 vcc, 5, v12
	v_cndmask_b32_e64 v12, 0, 1, vcc
.LBB31_3:
	s_or_b64 exec, exec, s[0:1]
	s_cbranch_execz .LBB31_5
	s_branch .LBB31_8
.LBB31_4:
                                        ; implicit-def: $vgpr12
                                        ; implicit-def: $vgpr11
                                        ; implicit-def: $vgpr4
                                        ; implicit-def: $vgpr13
.LBB31_5:
	s_add_i32 s0, s10, 0x700
	s_mov_b32 s1, 0
	s_lshl_b64 s[0:1], s[0:1], 1
	s_add_u32 s0, s12, s0
	s_addc_u32 s1, s13, s1
	v_mov_b32_e32 v4, 0
	global_load_ushort v12, v4, s[0:1]
	s_movk_i32 s0, 0xff
	v_cmp_ne_u32_e32 vcc, s0, v0
	ds_write_b16 v10, v2 offset:512
	s_waitcnt lgkmcnt(0)
	s_barrier
	s_and_saveexec_b64 s[0:1], vcc
	s_cbranch_execz .LBB31_7
; %bb.6:
	s_waitcnt vmcnt(0)
	ds_read_u16 v12, v10 offset:514
.LBB31_7:
	s_or_b64 exec, exec, s[0:1]
	v_and_b32_e32 v0, 0xffff, v2
	v_sub_u32_sdwa v0, v2, v0 dst_sel:DWORD dst_unused:UNUSED_PAD src0_sel:WORD_1 src1_sel:DWORD
	v_cmp_lt_i32_e32 vcc, 5, v0
	v_cndmask_b32_e64 v0, 0, 1, vcc
	v_cmp_lt_i32_e32 vcc, 5, v9
	v_cndmask_b32_e64 v2, 0, 1, vcc
	;; [unrolled: 2-line block ×4, first 2 shown]
	v_cmp_lt_i32_e32 vcc, 5, v6
	v_lshlrev_b16_e32 v2, 8, v2
	v_cndmask_b32_e64 v4, 0, 1, vcc
	v_cmp_lt_i32_e32 vcc, 5, v3
	s_waitcnt vmcnt(0) lgkmcnt(0)
	v_sub_u32_sdwa v3, v12, v5 dst_sel:DWORD dst_unused:UNUSED_PAD src0_sel:WORD_0 src1_sel:DWORD
	v_or_b32_e32 v0, v0, v2
	v_lshlrev_b16_e32 v2, 8, v7
	v_cndmask_b32_e64 v11, 0, 1, vcc
	v_cmp_lt_i32_e32 vcc, 5, v3
	v_or_b32_sdwa v2, v8, v2 dst_sel:WORD_1 dst_unused:UNUSED_PAD src0_sel:DWORD src1_sel:DWORD
	v_cndmask_b32_e64 v12, 0, 1, vcc
	v_or_b32_sdwa v13, v0, v2 dst_sel:DWORD dst_unused:UNUSED_PAD src0_sel:WORD_0 src1_sel:DWORD
.LBB31_8:
	s_lshl_b64 s[0:1], s[10:11], 3
	s_add_u32 s0, s14, s0
	v_lshlrev_b32_e32 v5, 3, v1
	v_mov_b32_e32 v1, 0
	s_addc_u32 s1, s15, s1
	v_and_b32_e32 v0, 0xff, v13
	v_bfe_u32 v2, v13, 8, 8
	v_mov_b32_e32 v3, v1
	global_store_dwordx4 v5, v[0:3], s[0:1]
	s_nop 0
	v_lshrrev_b32_e32 v2, 24, v13
	v_bfe_u32 v0, v13, 16, 8
	global_store_dwordx4 v5, v[0:3], s[0:1] offset:16
	s_nop 0
	v_and_b32_e32 v0, 0xff, v4
	v_and_b32_e32 v2, 0xff, v11
	global_store_dwordx4 v5, v[0:3], s[0:1] offset:32
	s_nop 0
	v_and_b32_e32 v0, 0xff, v12
	global_store_dwordx2 v5, v[0:1], s[0:1] offset:48
	s_endpgm
	.section	.rodata,"a",@progbits
	.p2align	6, 0x0
	.amdhsa_kernel _Z17flag_tails_kernelIth15custom_flag_op2ItELj256ELj7EEvPT_Px
		.amdhsa_group_segment_fixed_size 1024
		.amdhsa_private_segment_fixed_size 0
		.amdhsa_kernarg_size 16
		.amdhsa_user_sgpr_count 6
		.amdhsa_user_sgpr_private_segment_buffer 1
		.amdhsa_user_sgpr_dispatch_ptr 0
		.amdhsa_user_sgpr_queue_ptr 0
		.amdhsa_user_sgpr_kernarg_segment_ptr 1
		.amdhsa_user_sgpr_dispatch_id 0
		.amdhsa_user_sgpr_flat_scratch_init 0
		.amdhsa_user_sgpr_kernarg_preload_length 0
		.amdhsa_user_sgpr_kernarg_preload_offset 0
		.amdhsa_user_sgpr_private_segment_size 0
		.amdhsa_uses_dynamic_stack 0
		.amdhsa_system_sgpr_private_segment_wavefront_offset 0
		.amdhsa_system_sgpr_workgroup_id_x 1
		.amdhsa_system_sgpr_workgroup_id_y 0
		.amdhsa_system_sgpr_workgroup_id_z 0
		.amdhsa_system_sgpr_workgroup_info 0
		.amdhsa_system_vgpr_workitem_id 0
		.amdhsa_next_free_vgpr 16
		.amdhsa_next_free_sgpr 16
		.amdhsa_accum_offset 16
		.amdhsa_reserve_vcc 1
		.amdhsa_reserve_flat_scratch 0
		.amdhsa_float_round_mode_32 0
		.amdhsa_float_round_mode_16_64 0
		.amdhsa_float_denorm_mode_32 3
		.amdhsa_float_denorm_mode_16_64 3
		.amdhsa_dx10_clamp 1
		.amdhsa_ieee_mode 1
		.amdhsa_fp16_overflow 0
		.amdhsa_tg_split 0
		.amdhsa_exception_fp_ieee_invalid_op 0
		.amdhsa_exception_fp_denorm_src 0
		.amdhsa_exception_fp_ieee_div_zero 0
		.amdhsa_exception_fp_ieee_overflow 0
		.amdhsa_exception_fp_ieee_underflow 0
		.amdhsa_exception_fp_ieee_inexact 0
		.amdhsa_exception_int_div_zero 0
	.end_amdhsa_kernel
	.section	.text._Z17flag_tails_kernelIth15custom_flag_op2ItELj256ELj7EEvPT_Px,"axG",@progbits,_Z17flag_tails_kernelIth15custom_flag_op2ItELj256ELj7EEvPT_Px,comdat
.Lfunc_end31:
	.size	_Z17flag_tails_kernelIth15custom_flag_op2ItELj256ELj7EEvPT_Px, .Lfunc_end31-_Z17flag_tails_kernelIth15custom_flag_op2ItELj256ELj7EEvPT_Px
                                        ; -- End function
	.section	.AMDGPU.csdata,"",@progbits
; Kernel info:
; codeLenInByte = 704
; NumSgprs: 20
; NumVgprs: 16
; NumAgprs: 0
; TotalNumVgprs: 16
; ScratchSize: 0
; MemoryBound: 0
; FloatMode: 240
; IeeeMode: 1
; LDSByteSize: 1024 bytes/workgroup (compile time only)
; SGPRBlocks: 2
; VGPRBlocks: 1
; NumSGPRsForWavesPerEU: 20
; NumVGPRsForWavesPerEU: 16
; AccumOffset: 16
; Occupancy: 8
; WaveLimiterHint : 0
; COMPUTE_PGM_RSRC2:SCRATCH_EN: 0
; COMPUTE_PGM_RSRC2:USER_SGPR: 6
; COMPUTE_PGM_RSRC2:TRAP_HANDLER: 0
; COMPUTE_PGM_RSRC2:TGID_X_EN: 1
; COMPUTE_PGM_RSRC2:TGID_Y_EN: 0
; COMPUTE_PGM_RSRC2:TGID_Z_EN: 0
; COMPUTE_PGM_RSRC2:TIDIG_COMP_CNT: 0
; COMPUTE_PGM_RSRC3_GFX90A:ACCUM_OFFSET: 3
; COMPUTE_PGM_RSRC3_GFX90A:TG_SPLIT: 0
	.section	.text._Z17flag_tails_kernelIisN10test_utils4lessELj128ELj4EEvPT_Px,"axG",@progbits,_Z17flag_tails_kernelIisN10test_utils4lessELj128ELj4EEvPT_Px,comdat
	.protected	_Z17flag_tails_kernelIisN10test_utils4lessELj128ELj4EEvPT_Px ; -- Begin function _Z17flag_tails_kernelIisN10test_utils4lessELj128ELj4EEvPT_Px
	.globl	_Z17flag_tails_kernelIisN10test_utils4lessELj128ELj4EEvPT_Px
	.p2align	8
	.type	_Z17flag_tails_kernelIisN10test_utils4lessELj128ELj4EEvPT_Px,@function
_Z17flag_tails_kernelIisN10test_utils4lessELj128ELj4EEvPT_Px: ; @_Z17flag_tails_kernelIisN10test_utils4lessELj128ELj4EEvPT_Px
; %bb.0:
	s_load_dwordx4 s[8:11], s[4:5], 0x0
	s_lshl_b32 s12, s6, 9
	s_mov_b32 s13, 0
	s_lshl_b64 s[0:1], s[12:13], 2
	v_lshlrev_b32_e32 v1, 4, v0
	s_waitcnt lgkmcnt(0)
	s_add_u32 s8, s8, s0
	s_addc_u32 s9, s9, s1
	global_load_dwordx4 v[2:5], v1, s[8:9]
	s_bitcmp1_b32 s6, 0
	s_cselect_b64 s[0:1], -1, 0
	v_lshlrev_b32_e32 v1, 2, v0
	s_and_b64 vcc, exec, s[0:1]
	s_waitcnt vmcnt(0)
	v_cmp_lt_i32_e64 s[0:1], v4, v3
	v_cmp_lt_i32_e64 s[2:3], v3, v2
	;; [unrolled: 1-line block ×3, first 2 shown]
	s_cbranch_vccz .LBB32_4
; %bb.1:
	v_cndmask_b32_e64 v7, 0, 1, s[2:3]
	v_cndmask_b32_e64 v8, 0, 1, s[0:1]
	s_mov_b32 s2, 0x5040100
	v_cndmask_b32_e64 v6, 0, 1, s[4:5]
	v_perm_b32 v7, v8, v7, s2
	v_mov_b32_e32 v8, 0x5040100
	s_movk_i32 s0, 0x7f
	v_perm_b32 v6, 1, v6, v8
	v_cmp_ne_u32_e32 vcc, s0, v0
	ds_write_b32 v1, v2 offset:512
	s_waitcnt lgkmcnt(0)
	s_barrier
	s_and_saveexec_b64 s[0:1], vcc
	s_cbranch_execz .LBB32_3
; %bb.2:
	ds_read_b32 v8, v1 offset:516
	s_waitcnt lgkmcnt(0)
	v_cmp_lt_i32_e32 vcc, v8, v5
	v_cndmask_b32_e64 v8, 0, 1, vcc
	v_perm_b32 v6, v8, v6, s2
.LBB32_3:
	s_or_b64 exec, exec, s[0:1]
	s_cbranch_execz .LBB32_5
	s_branch .LBB32_8
.LBB32_4:
                                        ; implicit-def: $vgpr6
                                        ; implicit-def: $vgpr7
.LBB32_5:
	s_load_dword s0, s[8:9], 0x800
	s_movk_i32 s1, 0x7f
	v_cmp_ne_u32_e32 vcc, s1, v0
	ds_write_b32 v1, v2 offset:512
	s_waitcnt lgkmcnt(0)
	v_mov_b32_e32 v0, s0
	s_barrier
	s_and_saveexec_b64 s[0:1], vcc
	s_cbranch_execz .LBB32_7
; %bb.6:
	ds_read_b32 v0, v1 offset:516
.LBB32_7:
	s_or_b64 exec, exec, s[0:1]
	v_cmp_lt_i32_e32 vcc, v3, v2
	v_cndmask_b32_e64 v2, 0, 1, vcc
	v_cmp_lt_i32_e32 vcc, v4, v3
	v_cndmask_b32_e64 v3, 0, 1, vcc
	;; [unrolled: 2-line block ×3, first 2 shown]
	s_waitcnt lgkmcnt(0)
	v_cmp_lt_i32_e32 vcc, v0, v5
	v_cndmask_b32_e64 v0, 0, 1, vcc
	s_mov_b32 s0, 0x5040100
	v_perm_b32 v7, v3, v2, s0
	v_perm_b32 v6, v0, v4, s0
.LBB32_8:
	s_lshl_b64 s[0:1], s[12:13], 3
	v_lshrrev_b32_e32 v2, 16, v7
	s_add_u32 s0, s10, s0
	v_bfe_i32 v0, v7, 0, 16
	v_bfe_i32 v2, v2, 0, 16
	s_addc_u32 s1, s11, s1
	v_lshlrev_b32_e32 v4, 3, v1
	v_ashrrev_i32_e32 v1, 31, v0
	v_ashrrev_i32_e32 v3, 31, v2
	global_store_dwordx4 v4, v[0:3], s[0:1]
	s_nop 0
	v_lshrrev_b32_e32 v2, 16, v6
	v_bfe_i32 v0, v6, 0, 16
	v_bfe_i32 v2, v2, 0, 16
	v_ashrrev_i32_e32 v1, 31, v0
	v_ashrrev_i32_e32 v3, 31, v2
	global_store_dwordx4 v4, v[0:3], s[0:1] offset:16
	s_endpgm
	.section	.rodata,"a",@progbits
	.p2align	6, 0x0
	.amdhsa_kernel _Z17flag_tails_kernelIisN10test_utils4lessELj128ELj4EEvPT_Px
		.amdhsa_group_segment_fixed_size 1024
		.amdhsa_private_segment_fixed_size 0
		.amdhsa_kernarg_size 16
		.amdhsa_user_sgpr_count 6
		.amdhsa_user_sgpr_private_segment_buffer 1
		.amdhsa_user_sgpr_dispatch_ptr 0
		.amdhsa_user_sgpr_queue_ptr 0
		.amdhsa_user_sgpr_kernarg_segment_ptr 1
		.amdhsa_user_sgpr_dispatch_id 0
		.amdhsa_user_sgpr_flat_scratch_init 0
		.amdhsa_user_sgpr_kernarg_preload_length 0
		.amdhsa_user_sgpr_kernarg_preload_offset 0
		.amdhsa_user_sgpr_private_segment_size 0
		.amdhsa_uses_dynamic_stack 0
		.amdhsa_system_sgpr_private_segment_wavefront_offset 0
		.amdhsa_system_sgpr_workgroup_id_x 1
		.amdhsa_system_sgpr_workgroup_id_y 0
		.amdhsa_system_sgpr_workgroup_id_z 0
		.amdhsa_system_sgpr_workgroup_info 0
		.amdhsa_system_vgpr_workitem_id 0
		.amdhsa_next_free_vgpr 9
		.amdhsa_next_free_sgpr 14
		.amdhsa_accum_offset 12
		.amdhsa_reserve_vcc 1
		.amdhsa_reserve_flat_scratch 0
		.amdhsa_float_round_mode_32 0
		.amdhsa_float_round_mode_16_64 0
		.amdhsa_float_denorm_mode_32 3
		.amdhsa_float_denorm_mode_16_64 3
		.amdhsa_dx10_clamp 1
		.amdhsa_ieee_mode 1
		.amdhsa_fp16_overflow 0
		.amdhsa_tg_split 0
		.amdhsa_exception_fp_ieee_invalid_op 0
		.amdhsa_exception_fp_denorm_src 0
		.amdhsa_exception_fp_ieee_div_zero 0
		.amdhsa_exception_fp_ieee_overflow 0
		.amdhsa_exception_fp_ieee_underflow 0
		.amdhsa_exception_fp_ieee_inexact 0
		.amdhsa_exception_int_div_zero 0
	.end_amdhsa_kernel
	.section	.text._Z17flag_tails_kernelIisN10test_utils4lessELj128ELj4EEvPT_Px,"axG",@progbits,_Z17flag_tails_kernelIisN10test_utils4lessELj128ELj4EEvPT_Px,comdat
.Lfunc_end32:
	.size	_Z17flag_tails_kernelIisN10test_utils4lessELj128ELj4EEvPT_Px, .Lfunc_end32-_Z17flag_tails_kernelIisN10test_utils4lessELj128ELj4EEvPT_Px
                                        ; -- End function
	.section	.AMDGPU.csdata,"",@progbits
; Kernel info:
; codeLenInByte = 452
; NumSgprs: 18
; NumVgprs: 9
; NumAgprs: 0
; TotalNumVgprs: 9
; ScratchSize: 0
; MemoryBound: 0
; FloatMode: 240
; IeeeMode: 1
; LDSByteSize: 1024 bytes/workgroup (compile time only)
; SGPRBlocks: 2
; VGPRBlocks: 1
; NumSGPRsForWavesPerEU: 18
; NumVGPRsForWavesPerEU: 9
; AccumOffset: 12
; Occupancy: 8
; WaveLimiterHint : 0
; COMPUTE_PGM_RSRC2:SCRATCH_EN: 0
; COMPUTE_PGM_RSRC2:USER_SGPR: 6
; COMPUTE_PGM_RSRC2:TRAP_HANDLER: 0
; COMPUTE_PGM_RSRC2:TGID_X_EN: 1
; COMPUTE_PGM_RSRC2:TGID_Y_EN: 0
; COMPUTE_PGM_RSRC2:TGID_Z_EN: 0
; COMPUTE_PGM_RSRC2:TIDIG_COMP_CNT: 0
; COMPUTE_PGM_RSRC3_GFX90A:ACCUM_OFFSET: 2
; COMPUTE_PGM_RSRC3_GFX90A:TG_SPLIT: 0
	.section	.text._Z17flag_tails_kernelIic15custom_flag_op2IiELj64ELj2EEvPT_Px,"axG",@progbits,_Z17flag_tails_kernelIic15custom_flag_op2IiELj64ELj2EEvPT_Px,comdat
	.protected	_Z17flag_tails_kernelIic15custom_flag_op2IiELj64ELj2EEvPT_Px ; -- Begin function _Z17flag_tails_kernelIic15custom_flag_op2IiELj64ELj2EEvPT_Px
	.globl	_Z17flag_tails_kernelIic15custom_flag_op2IiELj64ELj2EEvPT_Px
	.p2align	8
	.type	_Z17flag_tails_kernelIic15custom_flag_op2IiELj64ELj2EEvPT_Px,@function
_Z17flag_tails_kernelIic15custom_flag_op2IiELj64ELj2EEvPT_Px: ; @_Z17flag_tails_kernelIic15custom_flag_op2IiELj64ELj2EEvPT_Px
; %bb.0:
	s_load_dwordx4 s[8:11], s[4:5], 0x0
	s_lshl_b32 s4, s6, 7
	s_mov_b32 s5, 0
	s_lshl_b64 s[0:1], s[4:5], 2
	v_lshlrev_b32_e32 v1, 3, v0
	s_waitcnt lgkmcnt(0)
	s_add_u32 s8, s8, s0
	s_addc_u32 s9, s9, s1
	global_load_dwordx2 v[2:3], v1, s[8:9]
	s_bitcmp1_b32 s6, 0
	s_cselect_b64 s[2:3], -1, 0
	v_lshlrev_b32_e32 v4, 2, v0
	v_cmp_ne_u32_e64 s[0:1], 63, v0
	s_and_b64 vcc, exec, s[2:3]
	s_waitcnt vmcnt(0)
	v_sub_u32_e32 v1, v3, v2
	v_cmp_lt_i32_e64 s[2:3], 5, v1
	s_cbranch_vccz .LBB33_4
; %bb.1:
	v_cndmask_b32_e64 v5, 0, 1, s[2:3]
	v_or_b32_e32 v5, 0x100, v5
	v_and_b32_e32 v5, 0xffff, v5
	ds_write_b32 v4, v2 offset:256
	s_waitcnt lgkmcnt(0)
	; wave barrier
	s_waitcnt lgkmcnt(0)
	s_and_saveexec_b64 s[2:3], s[0:1]
	s_cbranch_execz .LBB33_3
; %bb.2:
	ds_read_b32 v6, v4 offset:260
	s_waitcnt lgkmcnt(0)
	v_sub_u32_e32 v6, v6, v3
	v_cmp_lt_i32_e32 vcc, 5, v6
	v_cndmask_b32_e64 v6, 0, 1, vcc
	v_lshlrev_b16_e32 v6, 8, v6
	v_or_b32_sdwa v5, v5, v6 dst_sel:DWORD dst_unused:UNUSED_PAD src0_sel:BYTE_0 src1_sel:DWORD
	v_and_b32_e32 v5, 0xffff, v5
.LBB33_3:
	s_or_b64 exec, exec, s[2:3]
	v_lshlrev_b32_e32 v6, 1, v0
	s_cbranch_execz .LBB33_5
	s_branch .LBB33_8
.LBB33_4:
                                        ; implicit-def: $vgpr5
	v_lshlrev_b32_e32 v6, 1, v0
.LBB33_5:
	s_load_dword s0, s[8:9], 0x200
	v_cmp_ne_u32_e32 vcc, 63, v0
	ds_write_b32 v4, v2 offset:256
	s_waitcnt lgkmcnt(0)
	; wave barrier
	s_waitcnt lgkmcnt(0)
	v_mov_b32_e32 v0, s0
	s_and_saveexec_b64 s[0:1], vcc
	s_cbranch_execz .LBB33_7
; %bb.6:
	ds_read_b32 v0, v4 offset:260
.LBB33_7:
	s_or_b64 exec, exec, s[0:1]
	v_cmp_lt_i32_e32 vcc, 5, v1
	s_waitcnt lgkmcnt(0)
	v_sub_u32_e32 v0, v0, v3
	v_cndmask_b32_e64 v1, 0, 1, vcc
	v_cmp_lt_i32_e32 vcc, 5, v0
	v_cndmask_b32_e64 v0, 0, 1, vcc
	v_lshlrev_b16_e32 v0, 8, v0
	v_or_b32_e32 v0, v1, v0
	v_and_b32_e32 v5, 0xffff, v0
.LBB33_8:
	s_lshl_b64 s[0:1], s[4:5], 3
	v_lshrrev_b16_e32 v2, 8, v5
	s_add_u32 s0, s10, s0
	v_bfe_i32 v0, v5, 0, 8
	v_bfe_i32 v2, v2, 0, 8
	s_addc_u32 s1, s11, s1
	v_lshlrev_b32_e32 v4, 3, v6
	v_ashrrev_i32_e32 v1, 31, v0
	v_ashrrev_i32_e32 v3, 31, v2
	global_store_dwordx4 v4, v[0:3], s[0:1]
	s_endpgm
	.section	.rodata,"a",@progbits
	.p2align	6, 0x0
	.amdhsa_kernel _Z17flag_tails_kernelIic15custom_flag_op2IiELj64ELj2EEvPT_Px
		.amdhsa_group_segment_fixed_size 512
		.amdhsa_private_segment_fixed_size 0
		.amdhsa_kernarg_size 16
		.amdhsa_user_sgpr_count 6
		.amdhsa_user_sgpr_private_segment_buffer 1
		.amdhsa_user_sgpr_dispatch_ptr 0
		.amdhsa_user_sgpr_queue_ptr 0
		.amdhsa_user_sgpr_kernarg_segment_ptr 1
		.amdhsa_user_sgpr_dispatch_id 0
		.amdhsa_user_sgpr_flat_scratch_init 0
		.amdhsa_user_sgpr_kernarg_preload_length 0
		.amdhsa_user_sgpr_kernarg_preload_offset 0
		.amdhsa_user_sgpr_private_segment_size 0
		.amdhsa_uses_dynamic_stack 0
		.amdhsa_system_sgpr_private_segment_wavefront_offset 0
		.amdhsa_system_sgpr_workgroup_id_x 1
		.amdhsa_system_sgpr_workgroup_id_y 0
		.amdhsa_system_sgpr_workgroup_id_z 0
		.amdhsa_system_sgpr_workgroup_info 0
		.amdhsa_system_vgpr_workitem_id 0
		.amdhsa_next_free_vgpr 7
		.amdhsa_next_free_sgpr 12
		.amdhsa_accum_offset 8
		.amdhsa_reserve_vcc 1
		.amdhsa_reserve_flat_scratch 0
		.amdhsa_float_round_mode_32 0
		.amdhsa_float_round_mode_16_64 0
		.amdhsa_float_denorm_mode_32 3
		.amdhsa_float_denorm_mode_16_64 3
		.amdhsa_dx10_clamp 1
		.amdhsa_ieee_mode 1
		.amdhsa_fp16_overflow 0
		.amdhsa_tg_split 0
		.amdhsa_exception_fp_ieee_invalid_op 0
		.amdhsa_exception_fp_denorm_src 0
		.amdhsa_exception_fp_ieee_div_zero 0
		.amdhsa_exception_fp_ieee_overflow 0
		.amdhsa_exception_fp_ieee_underflow 0
		.amdhsa_exception_fp_ieee_inexact 0
		.amdhsa_exception_int_div_zero 0
	.end_amdhsa_kernel
	.section	.text._Z17flag_tails_kernelIic15custom_flag_op2IiELj64ELj2EEvPT_Px,"axG",@progbits,_Z17flag_tails_kernelIic15custom_flag_op2IiELj64ELj2EEvPT_Px,comdat
.Lfunc_end33:
	.size	_Z17flag_tails_kernelIic15custom_flag_op2IiELj64ELj2EEvPT_Px, .Lfunc_end33-_Z17flag_tails_kernelIic15custom_flag_op2IiELj64ELj2EEvPT_Px
                                        ; -- End function
	.section	.AMDGPU.csdata,"",@progbits
; Kernel info:
; codeLenInByte = 360
; NumSgprs: 16
; NumVgprs: 7
; NumAgprs: 0
; TotalNumVgprs: 7
; ScratchSize: 0
; MemoryBound: 0
; FloatMode: 240
; IeeeMode: 1
; LDSByteSize: 512 bytes/workgroup (compile time only)
; SGPRBlocks: 1
; VGPRBlocks: 0
; NumSGPRsForWavesPerEU: 16
; NumVGPRsForWavesPerEU: 7
; AccumOffset: 8
; Occupancy: 8
; WaveLimiterHint : 0
; COMPUTE_PGM_RSRC2:SCRATCH_EN: 0
; COMPUTE_PGM_RSRC2:USER_SGPR: 6
; COMPUTE_PGM_RSRC2:TRAP_HANDLER: 0
; COMPUTE_PGM_RSRC2:TGID_X_EN: 1
; COMPUTE_PGM_RSRC2:TGID_Y_EN: 0
; COMPUTE_PGM_RSRC2:TGID_Z_EN: 0
; COMPUTE_PGM_RSRC2:TIDIG_COMP_CNT: 0
; COMPUTE_PGM_RSRC3_GFX90A:ACCUM_OFFSET: 1
; COMPUTE_PGM_RSRC3_GFX90A:TG_SPLIT: 0
	.section	.text._Z17flag_tails_kernelIhbN6hipcub8EqualityELj255ELj1EEvPT_Px,"axG",@progbits,_Z17flag_tails_kernelIhbN6hipcub8EqualityELj255ELj1EEvPT_Px,comdat
	.protected	_Z17flag_tails_kernelIhbN6hipcub8EqualityELj255ELj1EEvPT_Px ; -- Begin function _Z17flag_tails_kernelIhbN6hipcub8EqualityELj255ELj1EEvPT_Px
	.globl	_Z17flag_tails_kernelIhbN6hipcub8EqualityELj255ELj1EEvPT_Px
	.p2align	8
	.type	_Z17flag_tails_kernelIhbN6hipcub8EqualityELj255ELj1EEvPT_Px,@function
_Z17flag_tails_kernelIhbN6hipcub8EqualityELj255ELj1EEvPT_Px: ; @_Z17flag_tails_kernelIhbN6hipcub8EqualityELj255ELj1EEvPT_Px
; %bb.0:
	s_load_dwordx4 s[0:3], s[4:5], 0x0
	s_mul_i32 s4, s6, 0xff
	s_mov_b32 s5, 0
	s_waitcnt lgkmcnt(0)
	s_add_u32 s8, s0, s4
	s_addc_u32 s9, s1, 0
	global_load_ubyte v1, v0, s[8:9]
	s_bitcmp1_b32 s6, 0
	s_cselect_b64 s[6:7], -1, 0
	s_and_b64 vcc, exec, s[6:7]
	s_cbranch_vccz .LBB34_4
; %bb.1:
	s_movk_i32 s6, 0xfe
	v_cmp_ne_u32_e32 vcc, s6, v0
	s_mov_b64 s[6:7], -1
	s_waitcnt vmcnt(0)
	ds_write_b8 v0, v1 offset:255
	s_waitcnt lgkmcnt(0)
	s_barrier
	s_and_saveexec_b64 s[8:9], vcc
	s_cbranch_execz .LBB34_3
; %bb.2:
	ds_read_u8 v2, v0 offset:256
	s_waitcnt lgkmcnt(0)
	v_cmp_eq_u16_sdwa s[6:7], v2, v1 src0_sel:DWORD src1_sel:BYTE_0
	s_orn2_b64 s[6:7], s[6:7], exec
.LBB34_3:
	s_or_b64 exec, exec, s[8:9]
	s_cbranch_execz .LBB34_5
	s_branch .LBB34_8
.LBB34_4:
                                        ; implicit-def: $sgpr6_sgpr7
.LBB34_5:
	s_add_i32 s6, s4, 0xff
	v_mov_b32_e32 v2, s6
	global_load_ubyte v2, v2, s[0:1]
	s_movk_i32 s0, 0xfe
	v_cmp_ne_u32_e32 vcc, s0, v0
	s_waitcnt vmcnt(1)
	ds_write_b8 v0, v1 offset:255
	s_waitcnt lgkmcnt(0)
	s_barrier
	s_and_saveexec_b64 s[0:1], vcc
	s_cbranch_execz .LBB34_7
; %bb.6:
	s_waitcnt vmcnt(0)
	ds_read_u8 v2, v0 offset:256
.LBB34_7:
	s_or_b64 exec, exec, s[0:1]
	s_waitcnt vmcnt(0) lgkmcnt(0)
	v_cmp_eq_u16_sdwa s[6:7], v2, v1 src0_sel:BYTE_0 src1_sel:BYTE_0
.LBB34_8:
	s_lshl_b64 s[0:1], s[4:5], 3
	s_add_u32 s0, s2, s0
	s_mov_b32 s2, 0
	s_addc_u32 s1, s3, s1
	v_lshlrev_b32_e32 v2, 3, v0
	v_cndmask_b32_e64 v0, 0, 1, s[6:7]
	s_waitcnt vmcnt(0)
	v_mov_b32_e32 v1, s2
	global_store_dwordx2 v2, v[0:1], s[0:1]
	s_endpgm
	.section	.rodata,"a",@progbits
	.p2align	6, 0x0
	.amdhsa_kernel _Z17flag_tails_kernelIhbN6hipcub8EqualityELj255ELj1EEvPT_Px
		.amdhsa_group_segment_fixed_size 510
		.amdhsa_private_segment_fixed_size 0
		.amdhsa_kernarg_size 16
		.amdhsa_user_sgpr_count 6
		.amdhsa_user_sgpr_private_segment_buffer 1
		.amdhsa_user_sgpr_dispatch_ptr 0
		.amdhsa_user_sgpr_queue_ptr 0
		.amdhsa_user_sgpr_kernarg_segment_ptr 1
		.amdhsa_user_sgpr_dispatch_id 0
		.amdhsa_user_sgpr_flat_scratch_init 0
		.amdhsa_user_sgpr_kernarg_preload_length 0
		.amdhsa_user_sgpr_kernarg_preload_offset 0
		.amdhsa_user_sgpr_private_segment_size 0
		.amdhsa_uses_dynamic_stack 0
		.amdhsa_system_sgpr_private_segment_wavefront_offset 0
		.amdhsa_system_sgpr_workgroup_id_x 1
		.amdhsa_system_sgpr_workgroup_id_y 0
		.amdhsa_system_sgpr_workgroup_id_z 0
		.amdhsa_system_sgpr_workgroup_info 0
		.amdhsa_system_vgpr_workitem_id 0
		.amdhsa_next_free_vgpr 3
		.amdhsa_next_free_sgpr 10
		.amdhsa_accum_offset 4
		.amdhsa_reserve_vcc 1
		.amdhsa_reserve_flat_scratch 0
		.amdhsa_float_round_mode_32 0
		.amdhsa_float_round_mode_16_64 0
		.amdhsa_float_denorm_mode_32 3
		.amdhsa_float_denorm_mode_16_64 3
		.amdhsa_dx10_clamp 1
		.amdhsa_ieee_mode 1
		.amdhsa_fp16_overflow 0
		.amdhsa_tg_split 0
		.amdhsa_exception_fp_ieee_invalid_op 0
		.amdhsa_exception_fp_denorm_src 0
		.amdhsa_exception_fp_ieee_div_zero 0
		.amdhsa_exception_fp_ieee_overflow 0
		.amdhsa_exception_fp_ieee_underflow 0
		.amdhsa_exception_fp_ieee_inexact 0
		.amdhsa_exception_int_div_zero 0
	.end_amdhsa_kernel
	.section	.text._Z17flag_tails_kernelIhbN6hipcub8EqualityELj255ELj1EEvPT_Px,"axG",@progbits,_Z17flag_tails_kernelIhbN6hipcub8EqualityELj255ELj1EEvPT_Px,comdat
.Lfunc_end34:
	.size	_Z17flag_tails_kernelIhbN6hipcub8EqualityELj255ELj1EEvPT_Px, .Lfunc_end34-_Z17flag_tails_kernelIhbN6hipcub8EqualityELj255ELj1EEvPT_Px
                                        ; -- End function
	.section	.AMDGPU.csdata,"",@progbits
; Kernel info:
; codeLenInByte = 264
; NumSgprs: 14
; NumVgprs: 3
; NumAgprs: 0
; TotalNumVgprs: 3
; ScratchSize: 0
; MemoryBound: 0
; FloatMode: 240
; IeeeMode: 1
; LDSByteSize: 510 bytes/workgroup (compile time only)
; SGPRBlocks: 1
; VGPRBlocks: 0
; NumSGPRsForWavesPerEU: 14
; NumVGPRsForWavesPerEU: 3
; AccumOffset: 4
; Occupancy: 8
; WaveLimiterHint : 0
; COMPUTE_PGM_RSRC2:SCRATCH_EN: 0
; COMPUTE_PGM_RSRC2:USER_SGPR: 6
; COMPUTE_PGM_RSRC2:TRAP_HANDLER: 0
; COMPUTE_PGM_RSRC2:TGID_X_EN: 1
; COMPUTE_PGM_RSRC2:TGID_Y_EN: 0
; COMPUTE_PGM_RSRC2:TGID_Z_EN: 0
; COMPUTE_PGM_RSRC2:TIDIG_COMP_CNT: 0
; COMPUTE_PGM_RSRC3_GFX90A:ACCUM_OFFSET: 0
; COMPUTE_PGM_RSRC3_GFX90A:TG_SPLIT: 0
	.section	.text._Z17flag_tails_kernelIjxN6hipcub10InequalityELj162ELj1EEvPT_Px,"axG",@progbits,_Z17flag_tails_kernelIjxN6hipcub10InequalityELj162ELj1EEvPT_Px,comdat
	.protected	_Z17flag_tails_kernelIjxN6hipcub10InequalityELj162ELj1EEvPT_Px ; -- Begin function _Z17flag_tails_kernelIjxN6hipcub10InequalityELj162ELj1EEvPT_Px
	.globl	_Z17flag_tails_kernelIjxN6hipcub10InequalityELj162ELj1EEvPT_Px
	.p2align	8
	.type	_Z17flag_tails_kernelIjxN6hipcub10InequalityELj162ELj1EEvPT_Px,@function
_Z17flag_tails_kernelIjxN6hipcub10InequalityELj162ELj1EEvPT_Px: ; @_Z17flag_tails_kernelIjxN6hipcub10InequalityELj162ELj1EEvPT_Px
; %bb.0:
	s_load_dwordx4 s[0:3], s[4:5], 0x0
	s_mul_i32 s4, s6, 0xa2
	s_mov_b32 s5, 0
	s_lshl_b64 s[8:9], s[4:5], 2
	v_lshlrev_b32_e32 v2, 2, v0
	s_waitcnt lgkmcnt(0)
	s_add_u32 s8, s0, s8
	s_addc_u32 s9, s1, s9
	global_load_dword v1, v2, s[8:9]
	s_bitcmp1_b32 s6, 0
	s_cselect_b64 s[6:7], -1, 0
	s_and_b64 vcc, exec, s[6:7]
	s_cbranch_vccz .LBB35_4
; %bb.1:
	s_movk_i32 s6, 0xa1
	v_cmp_ne_u32_e32 vcc, s6, v0
	s_mov_b64 s[6:7], -1
	s_waitcnt vmcnt(0)
	ds_write_b32 v2, v1 offset:648
	s_waitcnt lgkmcnt(0)
	s_barrier
	s_and_saveexec_b64 s[8:9], vcc
	s_cbranch_execz .LBB35_3
; %bb.2:
	ds_read_b32 v3, v2 offset:652
	s_waitcnt lgkmcnt(0)
	v_cmp_ne_u32_e32 vcc, v3, v1
	s_orn2_b64 s[6:7], vcc, exec
.LBB35_3:
	s_or_b64 exec, exec, s[8:9]
	s_cbranch_execz .LBB35_5
	s_branch .LBB35_8
.LBB35_4:
                                        ; implicit-def: $sgpr6_sgpr7
.LBB35_5:
	s_add_i32 s6, s4, 0xa2
	s_mov_b32 s7, 0
	s_lshl_b64 s[6:7], s[6:7], 2
	s_add_u32 s0, s0, s6
	s_addc_u32 s1, s1, s7
	s_load_dword s0, s[0:1], 0x0
	s_movk_i32 s1, 0xa1
	v_cmp_ne_u32_e32 vcc, s1, v0
	s_waitcnt vmcnt(0)
	ds_write_b32 v2, v1 offset:648
	s_waitcnt lgkmcnt(0)
	v_mov_b32_e32 v3, s0
	s_barrier
	s_and_saveexec_b64 s[0:1], vcc
	s_cbranch_execz .LBB35_7
; %bb.6:
	ds_read_b32 v3, v2 offset:652
.LBB35_7:
	s_or_b64 exec, exec, s[0:1]
	s_waitcnt lgkmcnt(0)
	v_cmp_ne_u32_e64 s[6:7], v3, v1
.LBB35_8:
	s_mov_b32 s0, 0
	v_mov_b32_e32 v3, s0
	s_lshl_b64 s[0:1], s[4:5], 3
	s_add_u32 s0, s2, s0
	v_cndmask_b32_e64 v2, 0, 1, s[6:7]
	s_addc_u32 s1, s3, s1
	v_lshlrev_b32_e32 v0, 3, v0
	global_store_dwordx2 v0, v[2:3], s[0:1]
	s_endpgm
	.section	.rodata,"a",@progbits
	.p2align	6, 0x0
	.amdhsa_kernel _Z17flag_tails_kernelIjxN6hipcub10InequalityELj162ELj1EEvPT_Px
		.amdhsa_group_segment_fixed_size 1296
		.amdhsa_private_segment_fixed_size 0
		.amdhsa_kernarg_size 16
		.amdhsa_user_sgpr_count 6
		.amdhsa_user_sgpr_private_segment_buffer 1
		.amdhsa_user_sgpr_dispatch_ptr 0
		.amdhsa_user_sgpr_queue_ptr 0
		.amdhsa_user_sgpr_kernarg_segment_ptr 1
		.amdhsa_user_sgpr_dispatch_id 0
		.amdhsa_user_sgpr_flat_scratch_init 0
		.amdhsa_user_sgpr_kernarg_preload_length 0
		.amdhsa_user_sgpr_kernarg_preload_offset 0
		.amdhsa_user_sgpr_private_segment_size 0
		.amdhsa_uses_dynamic_stack 0
		.amdhsa_system_sgpr_private_segment_wavefront_offset 0
		.amdhsa_system_sgpr_workgroup_id_x 1
		.amdhsa_system_sgpr_workgroup_id_y 0
		.amdhsa_system_sgpr_workgroup_id_z 0
		.amdhsa_system_sgpr_workgroup_info 0
		.amdhsa_system_vgpr_workitem_id 0
		.amdhsa_next_free_vgpr 4
		.amdhsa_next_free_sgpr 10
		.amdhsa_accum_offset 4
		.amdhsa_reserve_vcc 1
		.amdhsa_reserve_flat_scratch 0
		.amdhsa_float_round_mode_32 0
		.amdhsa_float_round_mode_16_64 0
		.amdhsa_float_denorm_mode_32 3
		.amdhsa_float_denorm_mode_16_64 3
		.amdhsa_dx10_clamp 1
		.amdhsa_ieee_mode 1
		.amdhsa_fp16_overflow 0
		.amdhsa_tg_split 0
		.amdhsa_exception_fp_ieee_invalid_op 0
		.amdhsa_exception_fp_denorm_src 0
		.amdhsa_exception_fp_ieee_div_zero 0
		.amdhsa_exception_fp_ieee_overflow 0
		.amdhsa_exception_fp_ieee_underflow 0
		.amdhsa_exception_fp_ieee_inexact 0
		.amdhsa_exception_int_div_zero 0
	.end_amdhsa_kernel
	.section	.text._Z17flag_tails_kernelIjxN6hipcub10InequalityELj162ELj1EEvPT_Px,"axG",@progbits,_Z17flag_tails_kernelIjxN6hipcub10InequalityELj162ELj1EEvPT_Px,comdat
.Lfunc_end35:
	.size	_Z17flag_tails_kernelIjxN6hipcub10InequalityELj162ELj1EEvPT_Px, .Lfunc_end35-_Z17flag_tails_kernelIjxN6hipcub10InequalityELj162ELj1EEvPT_Px
                                        ; -- End function
	.section	.AMDGPU.csdata,"",@progbits
; Kernel info:
; codeLenInByte = 276
; NumSgprs: 14
; NumVgprs: 4
; NumAgprs: 0
; TotalNumVgprs: 4
; ScratchSize: 0
; MemoryBound: 0
; FloatMode: 240
; IeeeMode: 1
; LDSByteSize: 1296 bytes/workgroup (compile time only)
; SGPRBlocks: 1
; VGPRBlocks: 0
; NumSGPRsForWavesPerEU: 14
; NumVGPRsForWavesPerEU: 4
; AccumOffset: 4
; Occupancy: 8
; WaveLimiterHint : 0
; COMPUTE_PGM_RSRC2:SCRATCH_EN: 0
; COMPUTE_PGM_RSRC2:USER_SGPR: 6
; COMPUTE_PGM_RSRC2:TRAP_HANDLER: 0
; COMPUTE_PGM_RSRC2:TGID_X_EN: 1
; COMPUTE_PGM_RSRC2:TGID_Y_EN: 0
; COMPUTE_PGM_RSRC2:TGID_Z_EN: 0
; COMPUTE_PGM_RSRC2:TIDIG_COMP_CNT: 0
; COMPUTE_PGM_RSRC3_GFX90A:ACCUM_OFFSET: 0
; COMPUTE_PGM_RSRC3_GFX90A:TG_SPLIT: 0
	.section	.text._Z17flag_tails_kernelIxcN10test_utils13greater_equalELj510ELj1EEvPT_Px,"axG",@progbits,_Z17flag_tails_kernelIxcN10test_utils13greater_equalELj510ELj1EEvPT_Px,comdat
	.protected	_Z17flag_tails_kernelIxcN10test_utils13greater_equalELj510ELj1EEvPT_Px ; -- Begin function _Z17flag_tails_kernelIxcN10test_utils13greater_equalELj510ELj1EEvPT_Px
	.globl	_Z17flag_tails_kernelIxcN10test_utils13greater_equalELj510ELj1EEvPT_Px
	.p2align	8
	.type	_Z17flag_tails_kernelIxcN10test_utils13greater_equalELj510ELj1EEvPT_Px,@function
_Z17flag_tails_kernelIxcN10test_utils13greater_equalELj510ELj1EEvPT_Px: ; @_Z17flag_tails_kernelIxcN10test_utils13greater_equalELj510ELj1EEvPT_Px
; %bb.0:
	s_load_dwordx4 s[0:3], s[4:5], 0x0
	s_mul_i32 s8, s6, 0x1fe
	s_mov_b32 s9, 0
	s_lshl_b64 s[4:5], s[8:9], 3
	v_lshlrev_b32_e32 v4, 3, v0
	s_waitcnt lgkmcnt(0)
	s_add_u32 s10, s0, s4
	s_addc_u32 s11, s1, s5
	global_load_dwordx2 v[2:3], v4, s[10:11]
	s_bitcmp1_b32 s6, 0
	s_cselect_b64 s[6:7], -1, 0
	s_and_b64 vcc, exec, s[6:7]
	s_cbranch_vccz .LBB36_4
; %bb.1:
	s_movk_i32 s6, 0x1fd
	v_cmp_ne_u32_e32 vcc, s6, v0
	s_mov_b64 s[6:7], -1
	s_waitcnt vmcnt(0)
	ds_write_b64 v4, v[2:3] offset:4080
	s_waitcnt lgkmcnt(0)
	s_barrier
	s_and_saveexec_b64 s[10:11], vcc
	s_cbranch_execz .LBB36_3
; %bb.2:
	ds_read_b64 v[6:7], v4 offset:4088
	s_waitcnt lgkmcnt(0)
	v_cmp_ge_i64_e32 vcc, v[6:7], v[2:3]
	s_orn2_b64 s[6:7], vcc, exec
.LBB36_3:
	s_or_b64 exec, exec, s[10:11]
	s_cbranch_execz .LBB36_5
	s_branch .LBB36_8
.LBB36_4:
                                        ; implicit-def: $sgpr6_sgpr7
.LBB36_5:
	s_add_i32 s6, s8, 0x1fe
	s_mov_b32 s7, 0
	s_lshl_b64 s[6:7], s[6:7], 3
	s_add_u32 s0, s0, s6
	s_addc_u32 s1, s1, s7
	s_load_dwordx2 s[0:1], s[0:1], 0x0
	s_movk_i32 s6, 0x1fd
	v_cmp_ne_u32_e32 vcc, s6, v0
	s_waitcnt vmcnt(0)
	ds_write_b64 v4, v[2:3] offset:4080
	s_waitcnt lgkmcnt(0)
	v_pk_mov_b32 v[0:1], s[0:1], s[0:1] op_sel:[0,1]
	s_barrier
	s_and_saveexec_b64 s[0:1], vcc
	s_cbranch_execz .LBB36_7
; %bb.6:
	ds_read_b64 v[0:1], v4 offset:4088
.LBB36_7:
	s_or_b64 exec, exec, s[0:1]
	s_waitcnt lgkmcnt(0)
	v_cmp_ge_i64_e64 s[6:7], v[0:1], v[2:3]
.LBB36_8:
	s_add_u32 s0, s2, s4
	s_mov_b32 s2, 0
	s_addc_u32 s1, s3, s5
	v_cndmask_b32_e64 v0, 0, 1, s[6:7]
	v_mov_b32_e32 v1, s2
	global_store_dwordx2 v4, v[0:1], s[0:1]
	s_endpgm
	.section	.rodata,"a",@progbits
	.p2align	6, 0x0
	.amdhsa_kernel _Z17flag_tails_kernelIxcN10test_utils13greater_equalELj510ELj1EEvPT_Px
		.amdhsa_group_segment_fixed_size 8160
		.amdhsa_private_segment_fixed_size 0
		.amdhsa_kernarg_size 16
		.amdhsa_user_sgpr_count 6
		.amdhsa_user_sgpr_private_segment_buffer 1
		.amdhsa_user_sgpr_dispatch_ptr 0
		.amdhsa_user_sgpr_queue_ptr 0
		.amdhsa_user_sgpr_kernarg_segment_ptr 1
		.amdhsa_user_sgpr_dispatch_id 0
		.amdhsa_user_sgpr_flat_scratch_init 0
		.amdhsa_user_sgpr_kernarg_preload_length 0
		.amdhsa_user_sgpr_kernarg_preload_offset 0
		.amdhsa_user_sgpr_private_segment_size 0
		.amdhsa_uses_dynamic_stack 0
		.amdhsa_system_sgpr_private_segment_wavefront_offset 0
		.amdhsa_system_sgpr_workgroup_id_x 1
		.amdhsa_system_sgpr_workgroup_id_y 0
		.amdhsa_system_sgpr_workgroup_id_z 0
		.amdhsa_system_sgpr_workgroup_info 0
		.amdhsa_system_vgpr_workitem_id 0
		.amdhsa_next_free_vgpr 8
		.amdhsa_next_free_sgpr 12
		.amdhsa_accum_offset 8
		.amdhsa_reserve_vcc 1
		.amdhsa_reserve_flat_scratch 0
		.amdhsa_float_round_mode_32 0
		.amdhsa_float_round_mode_16_64 0
		.amdhsa_float_denorm_mode_32 3
		.amdhsa_float_denorm_mode_16_64 3
		.amdhsa_dx10_clamp 1
		.amdhsa_ieee_mode 1
		.amdhsa_fp16_overflow 0
		.amdhsa_tg_split 0
		.amdhsa_exception_fp_ieee_invalid_op 0
		.amdhsa_exception_fp_denorm_src 0
		.amdhsa_exception_fp_ieee_div_zero 0
		.amdhsa_exception_fp_ieee_overflow 0
		.amdhsa_exception_fp_ieee_underflow 0
		.amdhsa_exception_fp_ieee_inexact 0
		.amdhsa_exception_int_div_zero 0
	.end_amdhsa_kernel
	.section	.text._Z17flag_tails_kernelIxcN10test_utils13greater_equalELj510ELj1EEvPT_Px,"axG",@progbits,_Z17flag_tails_kernelIxcN10test_utils13greater_equalELj510ELj1EEvPT_Px,comdat
.Lfunc_end36:
	.size	_Z17flag_tails_kernelIxcN10test_utils13greater_equalELj510ELj1EEvPT_Px, .Lfunc_end36-_Z17flag_tails_kernelIxcN10test_utils13greater_equalELj510ELj1EEvPT_Px
                                        ; -- End function
	.section	.AMDGPU.csdata,"",@progbits
; Kernel info:
; codeLenInByte = 272
; NumSgprs: 16
; NumVgprs: 8
; NumAgprs: 0
; TotalNumVgprs: 8
; ScratchSize: 0
; MemoryBound: 0
; FloatMode: 240
; IeeeMode: 1
; LDSByteSize: 8160 bytes/workgroup (compile time only)
; SGPRBlocks: 1
; VGPRBlocks: 0
; NumSGPRsForWavesPerEU: 16
; NumVGPRsForWavesPerEU: 8
; AccumOffset: 8
; Occupancy: 8
; WaveLimiterHint : 0
; COMPUTE_PGM_RSRC2:SCRATCH_EN: 0
; COMPUTE_PGM_RSRC2:USER_SGPR: 6
; COMPUTE_PGM_RSRC2:TRAP_HANDLER: 0
; COMPUTE_PGM_RSRC2:TGID_X_EN: 1
; COMPUTE_PGM_RSRC2:TGID_Y_EN: 0
; COMPUTE_PGM_RSRC2:TGID_Z_EN: 0
; COMPUTE_PGM_RSRC2:TIDIG_COMP_CNT: 0
; COMPUTE_PGM_RSRC3_GFX90A:ACCUM_OFFSET: 1
; COMPUTE_PGM_RSRC3_GFX90A:TG_SPLIT: 0
	.section	.text._Z17flag_tails_kernelI12hip_bfloat16iN10test_utils7greaterELj37ELj1EEvPT_Px,"axG",@progbits,_Z17flag_tails_kernelI12hip_bfloat16iN10test_utils7greaterELj37ELj1EEvPT_Px,comdat
	.protected	_Z17flag_tails_kernelI12hip_bfloat16iN10test_utils7greaterELj37ELj1EEvPT_Px ; -- Begin function _Z17flag_tails_kernelI12hip_bfloat16iN10test_utils7greaterELj37ELj1EEvPT_Px
	.globl	_Z17flag_tails_kernelI12hip_bfloat16iN10test_utils7greaterELj37ELj1EEvPT_Px
	.p2align	8
	.type	_Z17flag_tails_kernelI12hip_bfloat16iN10test_utils7greaterELj37ELj1EEvPT_Px,@function
_Z17flag_tails_kernelI12hip_bfloat16iN10test_utils7greaterELj37ELj1EEvPT_Px: ; @_Z17flag_tails_kernelI12hip_bfloat16iN10test_utils7greaterELj37ELj1EEvPT_Px
; %bb.0:
	s_load_dwordx4 s[8:11], s[4:5], 0x0
	s_mul_i32 s2, s6, 37
	s_mov_b32 s3, 0
	s_lshl_b64 s[0:1], s[2:3], 1
	v_lshlrev_b32_e32 v2, 1, v0
	s_waitcnt lgkmcnt(0)
	s_add_u32 s0, s8, s0
	s_addc_u32 s1, s9, s1
	global_load_ushort v1, v2, s[0:1]
	s_bitcmp1_b32 s6, 0
	s_cselect_b64 s[0:1], -1, 0
	s_and_b64 vcc, exec, s[0:1]
	v_cmp_ne_u32_e64 s[0:1], 36, v0
	s_cbranch_vccz .LBB37_4
; %bb.1:
	s_mov_b64 s[4:5], -1
	s_waitcnt vmcnt(0)
	ds_write_b16 v2, v1 offset:74
	s_waitcnt lgkmcnt(0)
	; wave barrier
	s_waitcnt lgkmcnt(0)
	s_and_saveexec_b64 s[6:7], s[0:1]
	s_cbranch_execz .LBB37_3
; %bb.2:
	ds_read_u16 v3, v2 offset:76
	v_lshlrev_b32_e32 v4, 16, v1
	s_waitcnt lgkmcnt(0)
	v_lshlrev_b32_e32 v3, 16, v3
	v_cmp_lt_f32_e32 vcc, v4, v3
	s_orn2_b64 s[4:5], vcc, exec
.LBB37_3:
	s_or_b64 exec, exec, s[6:7]
	s_cbranch_execz .LBB37_5
	s_branch .LBB37_8
.LBB37_4:
                                        ; implicit-def: $sgpr4_sgpr5
.LBB37_5:
	s_add_i32 s0, s2, 37
	s_mov_b32 s1, 0
	s_lshl_b64 s[0:1], s[0:1], 1
	s_add_u32 s0, s8, s0
	s_addc_u32 s1, s9, s1
	v_mov_b32_e32 v3, 0
	global_load_ushort v3, v3, s[0:1]
	v_cmp_ne_u32_e32 vcc, 36, v0
	s_waitcnt vmcnt(1)
	ds_write_b16 v2, v1 offset:74
	s_waitcnt lgkmcnt(0)
	; wave barrier
	s_waitcnt lgkmcnt(0)
	s_and_saveexec_b64 s[0:1], vcc
	s_cbranch_execz .LBB37_7
; %bb.6:
	s_waitcnt vmcnt(0)
	ds_read_u16 v3, v2 offset:76
.LBB37_7:
	s_or_b64 exec, exec, s[0:1]
	s_waitcnt vmcnt(0) lgkmcnt(0)
	v_lshlrev_b32_e32 v2, 16, v3
	v_lshlrev_b32_e32 v1, 16, v1
	v_cmp_lt_f32_e64 s[4:5], v1, v2
.LBB37_8:
	s_lshl_b64 s[0:1], s[2:3], 3
	s_add_u32 s0, s10, s0
	s_mov_b32 s2, 0
	s_addc_u32 s1, s11, s1
	v_lshlrev_b32_e32 v2, 3, v0
	v_cndmask_b32_e64 v0, 0, 1, s[4:5]
	s_waitcnt vmcnt(0)
	v_mov_b32_e32 v1, s2
	global_store_dwordx2 v2, v[0:1], s[0:1]
	s_endpgm
	.section	.rodata,"a",@progbits
	.p2align	6, 0x0
	.amdhsa_kernel _Z17flag_tails_kernelI12hip_bfloat16iN10test_utils7greaterELj37ELj1EEvPT_Px
		.amdhsa_group_segment_fixed_size 148
		.amdhsa_private_segment_fixed_size 0
		.amdhsa_kernarg_size 16
		.amdhsa_user_sgpr_count 6
		.amdhsa_user_sgpr_private_segment_buffer 1
		.amdhsa_user_sgpr_dispatch_ptr 0
		.amdhsa_user_sgpr_queue_ptr 0
		.amdhsa_user_sgpr_kernarg_segment_ptr 1
		.amdhsa_user_sgpr_dispatch_id 0
		.amdhsa_user_sgpr_flat_scratch_init 0
		.amdhsa_user_sgpr_kernarg_preload_length 0
		.amdhsa_user_sgpr_kernarg_preload_offset 0
		.amdhsa_user_sgpr_private_segment_size 0
		.amdhsa_uses_dynamic_stack 0
		.amdhsa_system_sgpr_private_segment_wavefront_offset 0
		.amdhsa_system_sgpr_workgroup_id_x 1
		.amdhsa_system_sgpr_workgroup_id_y 0
		.amdhsa_system_sgpr_workgroup_id_z 0
		.amdhsa_system_sgpr_workgroup_info 0
		.amdhsa_system_vgpr_workitem_id 0
		.amdhsa_next_free_vgpr 5
		.amdhsa_next_free_sgpr 12
		.amdhsa_accum_offset 8
		.amdhsa_reserve_vcc 1
		.amdhsa_reserve_flat_scratch 0
		.amdhsa_float_round_mode_32 0
		.amdhsa_float_round_mode_16_64 0
		.amdhsa_float_denorm_mode_32 3
		.amdhsa_float_denorm_mode_16_64 3
		.amdhsa_dx10_clamp 1
		.amdhsa_ieee_mode 1
		.amdhsa_fp16_overflow 0
		.amdhsa_tg_split 0
		.amdhsa_exception_fp_ieee_invalid_op 0
		.amdhsa_exception_fp_denorm_src 0
		.amdhsa_exception_fp_ieee_div_zero 0
		.amdhsa_exception_fp_ieee_overflow 0
		.amdhsa_exception_fp_ieee_underflow 0
		.amdhsa_exception_fp_ieee_inexact 0
		.amdhsa_exception_int_div_zero 0
	.end_amdhsa_kernel
	.section	.text._Z17flag_tails_kernelI12hip_bfloat16iN10test_utils7greaterELj37ELj1EEvPT_Px,"axG",@progbits,_Z17flag_tails_kernelI12hip_bfloat16iN10test_utils7greaterELj37ELj1EEvPT_Px,comdat
.Lfunc_end37:
	.size	_Z17flag_tails_kernelI12hip_bfloat16iN10test_utils7greaterELj37ELj1EEvPT_Px, .Lfunc_end37-_Z17flag_tails_kernelI12hip_bfloat16iN10test_utils7greaterELj37ELj1EEvPT_Px
                                        ; -- End function
	.section	.AMDGPU.csdata,"",@progbits
; Kernel info:
; codeLenInByte = 288
; NumSgprs: 16
; NumVgprs: 5
; NumAgprs: 0
; TotalNumVgprs: 5
; ScratchSize: 0
; MemoryBound: 0
; FloatMode: 240
; IeeeMode: 1
; LDSByteSize: 148 bytes/workgroup (compile time only)
; SGPRBlocks: 1
; VGPRBlocks: 0
; NumSGPRsForWavesPerEU: 16
; NumVGPRsForWavesPerEU: 5
; AccumOffset: 8
; Occupancy: 8
; WaveLimiterHint : 0
; COMPUTE_PGM_RSRC2:SCRATCH_EN: 0
; COMPUTE_PGM_RSRC2:USER_SGPR: 6
; COMPUTE_PGM_RSRC2:TRAP_HANDLER: 0
; COMPUTE_PGM_RSRC2:TGID_X_EN: 1
; COMPUTE_PGM_RSRC2:TGID_Y_EN: 0
; COMPUTE_PGM_RSRC2:TGID_Z_EN: 0
; COMPUTE_PGM_RSRC2:TIDIG_COMP_CNT: 0
; COMPUTE_PGM_RSRC3_GFX90A:ACCUM_OFFSET: 1
; COMPUTE_PGM_RSRC3_GFX90A:TG_SPLIT: 0
	.section	.text._Z17flag_tails_kernelI6__halfiN10test_utils7greaterELj37ELj1EEvPT_Px,"axG",@progbits,_Z17flag_tails_kernelI6__halfiN10test_utils7greaterELj37ELj1EEvPT_Px,comdat
	.protected	_Z17flag_tails_kernelI6__halfiN10test_utils7greaterELj37ELj1EEvPT_Px ; -- Begin function _Z17flag_tails_kernelI6__halfiN10test_utils7greaterELj37ELj1EEvPT_Px
	.globl	_Z17flag_tails_kernelI6__halfiN10test_utils7greaterELj37ELj1EEvPT_Px
	.p2align	8
	.type	_Z17flag_tails_kernelI6__halfiN10test_utils7greaterELj37ELj1EEvPT_Px,@function
_Z17flag_tails_kernelI6__halfiN10test_utils7greaterELj37ELj1EEvPT_Px: ; @_Z17flag_tails_kernelI6__halfiN10test_utils7greaterELj37ELj1EEvPT_Px
; %bb.0:
	s_load_dwordx4 s[8:11], s[4:5], 0x0
	s_mul_i32 s2, s6, 37
	s_mov_b32 s3, 0
	s_lshl_b64 s[0:1], s[2:3], 1
	v_lshlrev_b32_e32 v2, 1, v0
	s_waitcnt lgkmcnt(0)
	s_add_u32 s0, s8, s0
	s_addc_u32 s1, s9, s1
	global_load_ushort v1, v2, s[0:1]
	s_bitcmp1_b32 s6, 0
	s_cselect_b64 s[0:1], -1, 0
	s_and_b64 vcc, exec, s[0:1]
	v_cmp_ne_u32_e64 s[0:1], 36, v0
	s_cbranch_vccz .LBB38_4
; %bb.1:
	s_mov_b64 s[4:5], -1
	s_waitcnt vmcnt(0)
	ds_write_b16 v2, v1 offset:74
	s_waitcnt lgkmcnt(0)
	; wave barrier
	s_waitcnt lgkmcnt(0)
	s_and_saveexec_b64 s[6:7], s[0:1]
	s_cbranch_execz .LBB38_3
; %bb.2:
	ds_read_u16 v3, v2 offset:76
	s_waitcnt lgkmcnt(0)
	v_cmp_gt_f16_e32 vcc, v3, v1
	s_orn2_b64 s[4:5], vcc, exec
.LBB38_3:
	s_or_b64 exec, exec, s[6:7]
	s_cbranch_execz .LBB38_5
	s_branch .LBB38_8
.LBB38_4:
                                        ; implicit-def: $sgpr4_sgpr5
.LBB38_5:
	s_add_i32 s0, s2, 37
	s_mov_b32 s1, 0
	s_lshl_b64 s[0:1], s[0:1], 1
	s_add_u32 s0, s8, s0
	s_addc_u32 s1, s9, s1
	v_mov_b32_e32 v3, 0
	global_load_ushort v3, v3, s[0:1]
	v_cmp_ne_u32_e32 vcc, 36, v0
	s_waitcnt vmcnt(1)
	ds_write_b16 v2, v1 offset:74
	s_waitcnt lgkmcnt(0)
	; wave barrier
	s_waitcnt lgkmcnt(0)
	s_and_saveexec_b64 s[0:1], vcc
	s_cbranch_execz .LBB38_7
; %bb.6:
	s_waitcnt vmcnt(0)
	ds_read_u16 v3, v2 offset:76
.LBB38_7:
	s_or_b64 exec, exec, s[0:1]
	s_waitcnt vmcnt(0) lgkmcnt(0)
	v_cmp_gt_f16_e64 s[4:5], v3, v1
.LBB38_8:
	s_lshl_b64 s[0:1], s[2:3], 3
	s_add_u32 s0, s10, s0
	s_mov_b32 s2, 0
	s_addc_u32 s1, s11, s1
	v_lshlrev_b32_e32 v2, 3, v0
	v_cndmask_b32_e64 v0, 0, 1, s[4:5]
	s_waitcnt vmcnt(0)
	v_mov_b32_e32 v1, s2
	global_store_dwordx2 v2, v[0:1], s[0:1]
	s_endpgm
	.section	.rodata,"a",@progbits
	.p2align	6, 0x0
	.amdhsa_kernel _Z17flag_tails_kernelI6__halfiN10test_utils7greaterELj37ELj1EEvPT_Px
		.amdhsa_group_segment_fixed_size 148
		.amdhsa_private_segment_fixed_size 0
		.amdhsa_kernarg_size 16
		.amdhsa_user_sgpr_count 6
		.amdhsa_user_sgpr_private_segment_buffer 1
		.amdhsa_user_sgpr_dispatch_ptr 0
		.amdhsa_user_sgpr_queue_ptr 0
		.amdhsa_user_sgpr_kernarg_segment_ptr 1
		.amdhsa_user_sgpr_dispatch_id 0
		.amdhsa_user_sgpr_flat_scratch_init 0
		.amdhsa_user_sgpr_kernarg_preload_length 0
		.amdhsa_user_sgpr_kernarg_preload_offset 0
		.amdhsa_user_sgpr_private_segment_size 0
		.amdhsa_uses_dynamic_stack 0
		.amdhsa_system_sgpr_private_segment_wavefront_offset 0
		.amdhsa_system_sgpr_workgroup_id_x 1
		.amdhsa_system_sgpr_workgroup_id_y 0
		.amdhsa_system_sgpr_workgroup_id_z 0
		.amdhsa_system_sgpr_workgroup_info 0
		.amdhsa_system_vgpr_workitem_id 0
		.amdhsa_next_free_vgpr 4
		.amdhsa_next_free_sgpr 12
		.amdhsa_accum_offset 4
		.amdhsa_reserve_vcc 1
		.amdhsa_reserve_flat_scratch 0
		.amdhsa_float_round_mode_32 0
		.amdhsa_float_round_mode_16_64 0
		.amdhsa_float_denorm_mode_32 3
		.amdhsa_float_denorm_mode_16_64 3
		.amdhsa_dx10_clamp 1
		.amdhsa_ieee_mode 1
		.amdhsa_fp16_overflow 0
		.amdhsa_tg_split 0
		.amdhsa_exception_fp_ieee_invalid_op 0
		.amdhsa_exception_fp_denorm_src 0
		.amdhsa_exception_fp_ieee_div_zero 0
		.amdhsa_exception_fp_ieee_overflow 0
		.amdhsa_exception_fp_ieee_underflow 0
		.amdhsa_exception_fp_ieee_inexact 0
		.amdhsa_exception_int_div_zero 0
	.end_amdhsa_kernel
	.section	.text._Z17flag_tails_kernelI6__halfiN10test_utils7greaterELj37ELj1EEvPT_Px,"axG",@progbits,_Z17flag_tails_kernelI6__halfiN10test_utils7greaterELj37ELj1EEvPT_Px,comdat
.Lfunc_end38:
	.size	_Z17flag_tails_kernelI6__halfiN10test_utils7greaterELj37ELj1EEvPT_Px, .Lfunc_end38-_Z17flag_tails_kernelI6__halfiN10test_utils7greaterELj37ELj1EEvPT_Px
                                        ; -- End function
	.section	.AMDGPU.csdata,"",@progbits
; Kernel info:
; codeLenInByte = 272
; NumSgprs: 16
; NumVgprs: 4
; NumAgprs: 0
; TotalNumVgprs: 4
; ScratchSize: 0
; MemoryBound: 0
; FloatMode: 240
; IeeeMode: 1
; LDSByteSize: 148 bytes/workgroup (compile time only)
; SGPRBlocks: 1
; VGPRBlocks: 0
; NumSGPRsForWavesPerEU: 16
; NumVGPRsForWavesPerEU: 4
; AccumOffset: 4
; Occupancy: 8
; WaveLimiterHint : 0
; COMPUTE_PGM_RSRC2:SCRATCH_EN: 0
; COMPUTE_PGM_RSRC2:USER_SGPR: 6
; COMPUTE_PGM_RSRC2:TRAP_HANDLER: 0
; COMPUTE_PGM_RSRC2:TGID_X_EN: 1
; COMPUTE_PGM_RSRC2:TGID_Y_EN: 0
; COMPUTE_PGM_RSRC2:TGID_Z_EN: 0
; COMPUTE_PGM_RSRC2:TIDIG_COMP_CNT: 0
; COMPUTE_PGM_RSRC3_GFX90A:ACCUM_OFFSET: 0
; COMPUTE_PGM_RSRC3_GFX90A:TG_SPLIT: 0
	.section	.text._Z17flag_tails_kernelIfi15custom_flag_op1IfELj37ELj1EEvPT_Px,"axG",@progbits,_Z17flag_tails_kernelIfi15custom_flag_op1IfELj37ELj1EEvPT_Px,comdat
	.protected	_Z17flag_tails_kernelIfi15custom_flag_op1IfELj37ELj1EEvPT_Px ; -- Begin function _Z17flag_tails_kernelIfi15custom_flag_op1IfELj37ELj1EEvPT_Px
	.globl	_Z17flag_tails_kernelIfi15custom_flag_op1IfELj37ELj1EEvPT_Px
	.p2align	8
	.type	_Z17flag_tails_kernelIfi15custom_flag_op1IfELj37ELj1EEvPT_Px,@function
_Z17flag_tails_kernelIfi15custom_flag_op1IfELj37ELj1EEvPT_Px: ; @_Z17flag_tails_kernelIfi15custom_flag_op1IfELj37ELj1EEvPT_Px
; %bb.0:
	s_load_dwordx4 s[8:11], s[4:5], 0x0
	s_mul_i32 s2, s6, 37
	s_mov_b32 s3, 0
	s_lshl_b64 s[0:1], s[2:3], 2
	v_lshlrev_b32_e32 v2, 2, v0
	s_waitcnt lgkmcnt(0)
	s_add_u32 s0, s8, s0
	s_addc_u32 s1, s9, s1
	global_load_dword v1, v2, s[0:1]
	s_bitcmp1_b32 s6, 0
	s_cselect_b64 s[0:1], -1, 0
	s_and_b64 vcc, exec, s[0:1]
	v_cmp_ne_u32_e64 s[0:1], 36, v0
	s_cbranch_vccz .LBB39_6
; %bb.1:
	s_mov_b64 s[4:5], -1
	s_waitcnt vmcnt(0)
	ds_write_b32 v2, v1 offset:148
	s_waitcnt lgkmcnt(0)
	; wave barrier
	s_waitcnt lgkmcnt(0)
	s_and_saveexec_b64 s[6:7], s[0:1]
	s_cbranch_execz .LBB39_5
; %bb.2:
	ds_read_b32 v3, v2 offset:152
	s_waitcnt lgkmcnt(0)
	v_cmp_neq_f32_e32 vcc, v3, v1
	s_and_saveexec_b64 s[0:1], vcc
; %bb.3:
	s_movk_i32 s4, 0xcccd
	v_mad_legacy_u16 v3, v0, s4, s4
	v_lshlrev_b16_e32 v4, 15, v3
	v_lshrrev_b16_e32 v3, 1, v3
	v_or_b32_e32 v3, v3, v4
	s_movk_i32 s4, 0x199a
	v_cmp_gt_u16_e32 vcc, s4, v3
	s_orn2_b64 s[4:5], vcc, exec
; %bb.4:
	s_or_b64 exec, exec, s[0:1]
	s_orn2_b64 s[4:5], s[4:5], exec
.LBB39_5:
	s_or_b64 exec, exec, s[6:7]
	s_cbranch_execz .LBB39_7
	s_branch .LBB39_12
.LBB39_6:
                                        ; implicit-def: $sgpr4_sgpr5
.LBB39_7:
	s_add_i32 s0, s2, 37
	s_mov_b32 s1, 0
	s_lshl_b64 s[0:1], s[0:1], 2
	s_add_u32 s0, s8, s0
	s_addc_u32 s1, s9, s1
	s_load_dword s0, s[0:1], 0x0
	v_cmp_ne_u32_e32 vcc, 36, v0
	s_waitcnt vmcnt(0)
	ds_write_b32 v2, v1 offset:148
	s_waitcnt lgkmcnt(0)
	; wave barrier
	s_waitcnt lgkmcnt(0)
	v_mov_b32_e32 v3, s0
	s_and_saveexec_b64 s[0:1], vcc
	s_cbranch_execz .LBB39_9
; %bb.8:
	ds_read_b32 v3, v2 offset:152
.LBB39_9:
	s_or_b64 exec, exec, s[0:1]
	s_waitcnt lgkmcnt(0)
	v_cmp_neq_f32_e32 vcc, v3, v1
	s_mov_b64 s[4:5], -1
	s_and_saveexec_b64 s[0:1], vcc
; %bb.10:
	s_movk_i32 s4, 0xcccd
	v_mad_legacy_u16 v1, v0, s4, s4
	v_lshlrev_b16_e32 v2, 15, v1
	v_lshrrev_b16_e32 v1, 1, v1
	v_or_b32_e32 v1, v1, v2
	s_movk_i32 s4, 0x199a
	v_cmp_gt_u16_e32 vcc, s4, v1
	s_orn2_b64 s[4:5], vcc, exec
; %bb.11:
	s_or_b64 exec, exec, s[0:1]
.LBB39_12:
	s_lshl_b64 s[0:1], s[2:3], 3
	s_add_u32 s0, s10, s0
	s_mov_b32 s2, 0
	s_addc_u32 s1, s11, s1
	v_lshlrev_b32_e32 v2, 3, v0
	v_cndmask_b32_e64 v0, 0, 1, s[4:5]
	s_waitcnt vmcnt(0)
	v_mov_b32_e32 v1, s2
	global_store_dwordx2 v2, v[0:1], s[0:1]
	s_endpgm
	.section	.rodata,"a",@progbits
	.p2align	6, 0x0
	.amdhsa_kernel _Z17flag_tails_kernelIfi15custom_flag_op1IfELj37ELj1EEvPT_Px
		.amdhsa_group_segment_fixed_size 296
		.amdhsa_private_segment_fixed_size 0
		.amdhsa_kernarg_size 16
		.amdhsa_user_sgpr_count 6
		.amdhsa_user_sgpr_private_segment_buffer 1
		.amdhsa_user_sgpr_dispatch_ptr 0
		.amdhsa_user_sgpr_queue_ptr 0
		.amdhsa_user_sgpr_kernarg_segment_ptr 1
		.amdhsa_user_sgpr_dispatch_id 0
		.amdhsa_user_sgpr_flat_scratch_init 0
		.amdhsa_user_sgpr_kernarg_preload_length 0
		.amdhsa_user_sgpr_kernarg_preload_offset 0
		.amdhsa_user_sgpr_private_segment_size 0
		.amdhsa_uses_dynamic_stack 0
		.amdhsa_system_sgpr_private_segment_wavefront_offset 0
		.amdhsa_system_sgpr_workgroup_id_x 1
		.amdhsa_system_sgpr_workgroup_id_y 0
		.amdhsa_system_sgpr_workgroup_id_z 0
		.amdhsa_system_sgpr_workgroup_info 0
		.amdhsa_system_vgpr_workitem_id 0
		.amdhsa_next_free_vgpr 5
		.amdhsa_next_free_sgpr 12
		.amdhsa_accum_offset 8
		.amdhsa_reserve_vcc 1
		.amdhsa_reserve_flat_scratch 0
		.amdhsa_float_round_mode_32 0
		.amdhsa_float_round_mode_16_64 0
		.amdhsa_float_denorm_mode_32 3
		.amdhsa_float_denorm_mode_16_64 3
		.amdhsa_dx10_clamp 1
		.amdhsa_ieee_mode 1
		.amdhsa_fp16_overflow 0
		.amdhsa_tg_split 0
		.amdhsa_exception_fp_ieee_invalid_op 0
		.amdhsa_exception_fp_denorm_src 0
		.amdhsa_exception_fp_ieee_div_zero 0
		.amdhsa_exception_fp_ieee_overflow 0
		.amdhsa_exception_fp_ieee_underflow 0
		.amdhsa_exception_fp_ieee_inexact 0
		.amdhsa_exception_int_div_zero 0
	.end_amdhsa_kernel
	.section	.text._Z17flag_tails_kernelIfi15custom_flag_op1IfELj37ELj1EEvPT_Px,"axG",@progbits,_Z17flag_tails_kernelIfi15custom_flag_op1IfELj37ELj1EEvPT_Px,comdat
.Lfunc_end39:
	.size	_Z17flag_tails_kernelIfi15custom_flag_op1IfELj37ELj1EEvPT_Px, .Lfunc_end39-_Z17flag_tails_kernelIfi15custom_flag_op1IfELj37ELj1EEvPT_Px
                                        ; -- End function
	.section	.AMDGPU.csdata,"",@progbits
; Kernel info:
; codeLenInByte = 356
; NumSgprs: 16
; NumVgprs: 5
; NumAgprs: 0
; TotalNumVgprs: 5
; ScratchSize: 0
; MemoryBound: 0
; FloatMode: 240
; IeeeMode: 1
; LDSByteSize: 296 bytes/workgroup (compile time only)
; SGPRBlocks: 1
; VGPRBlocks: 0
; NumSGPRsForWavesPerEU: 16
; NumVGPRsForWavesPerEU: 5
; AccumOffset: 8
; Occupancy: 8
; WaveLimiterHint : 0
; COMPUTE_PGM_RSRC2:SCRATCH_EN: 0
; COMPUTE_PGM_RSRC2:USER_SGPR: 6
; COMPUTE_PGM_RSRC2:TRAP_HANDLER: 0
; COMPUTE_PGM_RSRC2:TGID_X_EN: 1
; COMPUTE_PGM_RSRC2:TGID_Y_EN: 0
; COMPUTE_PGM_RSRC2:TGID_Z_EN: 0
; COMPUTE_PGM_RSRC2:TIDIG_COMP_CNT: 0
; COMPUTE_PGM_RSRC3_GFX90A:ACCUM_OFFSET: 1
; COMPUTE_PGM_RSRC3_GFX90A:TG_SPLIT: 0
	.section	.text._Z17flag_tails_kernelIdjN10test_utils7greaterELj65ELj1EEvPT_Px,"axG",@progbits,_Z17flag_tails_kernelIdjN10test_utils7greaterELj65ELj1EEvPT_Px,comdat
	.protected	_Z17flag_tails_kernelIdjN10test_utils7greaterELj65ELj1EEvPT_Px ; -- Begin function _Z17flag_tails_kernelIdjN10test_utils7greaterELj65ELj1EEvPT_Px
	.globl	_Z17flag_tails_kernelIdjN10test_utils7greaterELj65ELj1EEvPT_Px
	.p2align	8
	.type	_Z17flag_tails_kernelIdjN10test_utils7greaterELj65ELj1EEvPT_Px,@function
_Z17flag_tails_kernelIdjN10test_utils7greaterELj65ELj1EEvPT_Px: ; @_Z17flag_tails_kernelIdjN10test_utils7greaterELj65ELj1EEvPT_Px
; %bb.0:
	s_load_dwordx4 s[8:11], s[4:5], 0x0
	s_mul_i32 s4, s6, 0x41
	s_mov_b32 s5, 0
	s_lshl_b64 s[2:3], s[4:5], 3
	v_lshlrev_b32_e32 v4, 3, v0
	s_waitcnt lgkmcnt(0)
	s_add_u32 s0, s8, s2
	s_addc_u32 s1, s9, s3
	global_load_dwordx2 v[2:3], v4, s[0:1]
	s_bitcmp1_b32 s6, 0
	s_cselect_b64 s[0:1], -1, 0
	s_and_b64 vcc, exec, s[0:1]
	v_cmp_ne_u32_e64 s[0:1], 64, v0
	s_cbranch_vccz .LBB40_4
; %bb.1:
	s_mov_b64 s[6:7], -1
	s_waitcnt vmcnt(0)
	ds_write_b64 v4, v[2:3] offset:520
	s_waitcnt lgkmcnt(0)
	s_barrier
	s_and_saveexec_b64 s[12:13], s[0:1]
	s_cbranch_execz .LBB40_3
; %bb.2:
	ds_read_b64 v[6:7], v4 offset:528
	s_waitcnt lgkmcnt(0)
	v_cmp_gt_f64_e32 vcc, v[6:7], v[2:3]
	s_orn2_b64 s[6:7], vcc, exec
.LBB40_3:
	s_or_b64 exec, exec, s[12:13]
	s_cbranch_execz .LBB40_5
	s_branch .LBB40_8
.LBB40_4:
                                        ; implicit-def: $sgpr6_sgpr7
.LBB40_5:
	s_add_i32 s0, s4, 0x41
	s_mov_b32 s1, 0
	s_lshl_b64 s[0:1], s[0:1], 3
	s_add_u32 s0, s8, s0
	s_addc_u32 s1, s9, s1
	s_load_dwordx2 s[0:1], s[0:1], 0x0
	v_cmp_ne_u32_e32 vcc, 64, v0
	s_waitcnt vmcnt(0)
	ds_write_b64 v4, v[2:3] offset:520
	s_waitcnt lgkmcnt(0)
	s_barrier
	v_pk_mov_b32 v[0:1], s[0:1], s[0:1] op_sel:[0,1]
	s_and_saveexec_b64 s[0:1], vcc
	s_cbranch_execz .LBB40_7
; %bb.6:
	ds_read_b64 v[0:1], v4 offset:528
.LBB40_7:
	s_or_b64 exec, exec, s[0:1]
	s_waitcnt lgkmcnt(0)
	v_cmp_gt_f64_e64 s[6:7], v[0:1], v[2:3]
.LBB40_8:
	s_add_u32 s0, s10, s2
	s_mov_b32 s2, 0
	s_addc_u32 s1, s11, s3
	v_cndmask_b32_e64 v0, 0, 1, s[6:7]
	v_mov_b32_e32 v1, s2
	global_store_dwordx2 v4, v[0:1], s[0:1]
	s_endpgm
	.section	.rodata,"a",@progbits
	.p2align	6, 0x0
	.amdhsa_kernel _Z17flag_tails_kernelIdjN10test_utils7greaterELj65ELj1EEvPT_Px
		.amdhsa_group_segment_fixed_size 1040
		.amdhsa_private_segment_fixed_size 0
		.amdhsa_kernarg_size 16
		.amdhsa_user_sgpr_count 6
		.amdhsa_user_sgpr_private_segment_buffer 1
		.amdhsa_user_sgpr_dispatch_ptr 0
		.amdhsa_user_sgpr_queue_ptr 0
		.amdhsa_user_sgpr_kernarg_segment_ptr 1
		.amdhsa_user_sgpr_dispatch_id 0
		.amdhsa_user_sgpr_flat_scratch_init 0
		.amdhsa_user_sgpr_kernarg_preload_length 0
		.amdhsa_user_sgpr_kernarg_preload_offset 0
		.amdhsa_user_sgpr_private_segment_size 0
		.amdhsa_uses_dynamic_stack 0
		.amdhsa_system_sgpr_private_segment_wavefront_offset 0
		.amdhsa_system_sgpr_workgroup_id_x 1
		.amdhsa_system_sgpr_workgroup_id_y 0
		.amdhsa_system_sgpr_workgroup_id_z 0
		.amdhsa_system_sgpr_workgroup_info 0
		.amdhsa_system_vgpr_workitem_id 0
		.amdhsa_next_free_vgpr 8
		.amdhsa_next_free_sgpr 14
		.amdhsa_accum_offset 8
		.amdhsa_reserve_vcc 1
		.amdhsa_reserve_flat_scratch 0
		.amdhsa_float_round_mode_32 0
		.amdhsa_float_round_mode_16_64 0
		.amdhsa_float_denorm_mode_32 3
		.amdhsa_float_denorm_mode_16_64 3
		.amdhsa_dx10_clamp 1
		.amdhsa_ieee_mode 1
		.amdhsa_fp16_overflow 0
		.amdhsa_tg_split 0
		.amdhsa_exception_fp_ieee_invalid_op 0
		.amdhsa_exception_fp_denorm_src 0
		.amdhsa_exception_fp_ieee_div_zero 0
		.amdhsa_exception_fp_ieee_overflow 0
		.amdhsa_exception_fp_ieee_underflow 0
		.amdhsa_exception_fp_ieee_inexact 0
		.amdhsa_exception_int_div_zero 0
	.end_amdhsa_kernel
	.section	.text._Z17flag_tails_kernelIdjN10test_utils7greaterELj65ELj1EEvPT_Px,"axG",@progbits,_Z17flag_tails_kernelIdjN10test_utils7greaterELj65ELj1EEvPT_Px,comdat
.Lfunc_end40:
	.size	_Z17flag_tails_kernelIdjN10test_utils7greaterELj65ELj1EEvPT_Px, .Lfunc_end40-_Z17flag_tails_kernelIdjN10test_utils7greaterELj65ELj1EEvPT_Px
                                        ; -- End function
	.section	.AMDGPU.csdata,"",@progbits
; Kernel info:
; codeLenInByte = 268
; NumSgprs: 18
; NumVgprs: 8
; NumAgprs: 0
; TotalNumVgprs: 8
; ScratchSize: 0
; MemoryBound: 0
; FloatMode: 240
; IeeeMode: 1
; LDSByteSize: 1040 bytes/workgroup (compile time only)
; SGPRBlocks: 2
; VGPRBlocks: 0
; NumSGPRsForWavesPerEU: 18
; NumVGPRsForWavesPerEU: 8
; AccumOffset: 8
; Occupancy: 8
; WaveLimiterHint : 0
; COMPUTE_PGM_RSRC2:SCRATCH_EN: 0
; COMPUTE_PGM_RSRC2:USER_SGPR: 6
; COMPUTE_PGM_RSRC2:TRAP_HANDLER: 0
; COMPUTE_PGM_RSRC2:TGID_X_EN: 1
; COMPUTE_PGM_RSRC2:TGID_Y_EN: 0
; COMPUTE_PGM_RSRC2:TGID_Z_EN: 0
; COMPUTE_PGM_RSRC2:TIDIG_COMP_CNT: 0
; COMPUTE_PGM_RSRC3_GFX90A:ACCUM_OFFSET: 1
; COMPUTE_PGM_RSRC3_GFX90A:TG_SPLIT: 0
	.section	.text._Z17flag_tails_kernelIib15custom_flag_op1IiELj256ELj1EEvPT_Px,"axG",@progbits,_Z17flag_tails_kernelIib15custom_flag_op1IiELj256ELj1EEvPT_Px,comdat
	.protected	_Z17flag_tails_kernelIib15custom_flag_op1IiELj256ELj1EEvPT_Px ; -- Begin function _Z17flag_tails_kernelIib15custom_flag_op1IiELj256ELj1EEvPT_Px
	.globl	_Z17flag_tails_kernelIib15custom_flag_op1IiELj256ELj1EEvPT_Px
	.p2align	8
	.type	_Z17flag_tails_kernelIib15custom_flag_op1IiELj256ELj1EEvPT_Px,@function
_Z17flag_tails_kernelIib15custom_flag_op1IiELj256ELj1EEvPT_Px: ; @_Z17flag_tails_kernelIib15custom_flag_op1IiELj256ELj1EEvPT_Px
; %bb.0:
	s_load_dwordx4 s[0:3], s[4:5], 0x0
	s_lshl_b32 s4, s6, 8
	s_mov_b32 s5, 0
	s_lshl_b64 s[8:9], s[4:5], 2
	v_lshlrev_b32_e32 v2, 2, v0
	s_waitcnt lgkmcnt(0)
	s_add_u32 s0, s0, s8
	s_addc_u32 s1, s1, s9
	global_load_dword v1, v2, s[0:1]
	s_bitcmp1_b32 s6, 0
	s_cselect_b64 s[6:7], -1, 0
	s_and_b64 vcc, exec, s[6:7]
	s_cbranch_vccz .LBB41_6
; %bb.1:
	s_movk_i32 s6, 0xff
	v_cmp_ne_u32_e32 vcc, s6, v0
	s_mov_b64 s[6:7], -1
	s_waitcnt vmcnt(0)
	ds_write_b32 v2, v1 offset:1024
	s_waitcnt lgkmcnt(0)
	s_barrier
	s_and_saveexec_b64 s[8:9], vcc
	s_cbranch_execz .LBB41_5
; %bb.2:
	ds_read_b32 v3, v2 offset:1028
	s_mov_b64 s[10:11], -1
	s_waitcnt lgkmcnt(0)
	v_cmp_ne_u32_e32 vcc, v3, v1
	s_and_saveexec_b64 s[6:7], vcc
; %bb.3:
	s_movk_i32 s10, 0xcccd
	v_mad_legacy_u16 v3, v0, s10, s10
	v_lshlrev_b16_e32 v4, 15, v3
	v_lshrrev_b16_e32 v3, 1, v3
	v_or_b32_e32 v3, v3, v4
	s_movk_i32 s10, 0x199a
	v_cmp_gt_u16_e32 vcc, s10, v3
	s_orn2_b64 s[10:11], vcc, exec
; %bb.4:
	s_or_b64 exec, exec, s[6:7]
	s_orn2_b64 s[6:7], s[10:11], exec
.LBB41_5:
	s_or_b64 exec, exec, s[8:9]
	s_cbranch_execz .LBB41_7
	s_branch .LBB41_12
.LBB41_6:
                                        ; implicit-def: $sgpr6_sgpr7
.LBB41_7:
	s_load_dword s0, s[0:1], 0x400
	s_movk_i32 s1, 0xff
	v_cmp_ne_u32_e32 vcc, s1, v0
	s_waitcnt vmcnt(0)
	ds_write_b32 v2, v1 offset:1024
	s_waitcnt lgkmcnt(0)
	v_mov_b32_e32 v3, s0
	s_barrier
	s_and_saveexec_b64 s[0:1], vcc
	s_cbranch_execz .LBB41_9
; %bb.8:
	ds_read_b32 v3, v2 offset:1028
.LBB41_9:
	s_or_b64 exec, exec, s[0:1]
	s_waitcnt lgkmcnt(0)
	v_cmp_ne_u32_e32 vcc, v3, v1
	s_mov_b64 s[6:7], -1
	s_and_saveexec_b64 s[0:1], vcc
; %bb.10:
	s_movk_i32 s6, 0xcccd
	v_mad_legacy_u16 v1, v0, s6, s6
	v_lshlrev_b16_e32 v2, 15, v1
	v_lshrrev_b16_e32 v1, 1, v1
	v_or_b32_e32 v1, v1, v2
	s_movk_i32 s6, 0x199a
	v_cmp_gt_u16_e32 vcc, s6, v1
	s_orn2_b64 s[6:7], vcc, exec
; %bb.11:
	s_or_b64 exec, exec, s[0:1]
.LBB41_12:
	s_lshl_b64 s[0:1], s[4:5], 3
	s_add_u32 s0, s2, s0
	s_mov_b32 s2, 0
	s_addc_u32 s1, s3, s1
	v_lshlrev_b32_e32 v2, 3, v0
	v_cndmask_b32_e64 v0, 0, 1, s[6:7]
	s_waitcnt vmcnt(0)
	v_mov_b32_e32 v1, s2
	global_store_dwordx2 v2, v[0:1], s[0:1]
	s_endpgm
	.section	.rodata,"a",@progbits
	.p2align	6, 0x0
	.amdhsa_kernel _Z17flag_tails_kernelIib15custom_flag_op1IiELj256ELj1EEvPT_Px
		.amdhsa_group_segment_fixed_size 2048
		.amdhsa_private_segment_fixed_size 0
		.amdhsa_kernarg_size 16
		.amdhsa_user_sgpr_count 6
		.amdhsa_user_sgpr_private_segment_buffer 1
		.amdhsa_user_sgpr_dispatch_ptr 0
		.amdhsa_user_sgpr_queue_ptr 0
		.amdhsa_user_sgpr_kernarg_segment_ptr 1
		.amdhsa_user_sgpr_dispatch_id 0
		.amdhsa_user_sgpr_flat_scratch_init 0
		.amdhsa_user_sgpr_kernarg_preload_length 0
		.amdhsa_user_sgpr_kernarg_preload_offset 0
		.amdhsa_user_sgpr_private_segment_size 0
		.amdhsa_uses_dynamic_stack 0
		.amdhsa_system_sgpr_private_segment_wavefront_offset 0
		.amdhsa_system_sgpr_workgroup_id_x 1
		.amdhsa_system_sgpr_workgroup_id_y 0
		.amdhsa_system_sgpr_workgroup_id_z 0
		.amdhsa_system_sgpr_workgroup_info 0
		.amdhsa_system_vgpr_workitem_id 0
		.amdhsa_next_free_vgpr 5
		.amdhsa_next_free_sgpr 12
		.amdhsa_accum_offset 8
		.amdhsa_reserve_vcc 1
		.amdhsa_reserve_flat_scratch 0
		.amdhsa_float_round_mode_32 0
		.amdhsa_float_round_mode_16_64 0
		.amdhsa_float_denorm_mode_32 3
		.amdhsa_float_denorm_mode_16_64 3
		.amdhsa_dx10_clamp 1
		.amdhsa_ieee_mode 1
		.amdhsa_fp16_overflow 0
		.amdhsa_tg_split 0
		.amdhsa_exception_fp_ieee_invalid_op 0
		.amdhsa_exception_fp_denorm_src 0
		.amdhsa_exception_fp_ieee_div_zero 0
		.amdhsa_exception_fp_ieee_overflow 0
		.amdhsa_exception_fp_ieee_underflow 0
		.amdhsa_exception_fp_ieee_inexact 0
		.amdhsa_exception_int_div_zero 0
	.end_amdhsa_kernel
	.section	.text._Z17flag_tails_kernelIib15custom_flag_op1IiELj256ELj1EEvPT_Px,"axG",@progbits,_Z17flag_tails_kernelIib15custom_flag_op1IiELj256ELj1EEvPT_Px,comdat
.Lfunc_end41:
	.size	_Z17flag_tails_kernelIib15custom_flag_op1IiELj256ELj1EEvPT_Px, .Lfunc_end41-_Z17flag_tails_kernelIib15custom_flag_op1IiELj256ELj1EEvPT_Px
                                        ; -- End function
	.section	.AMDGPU.csdata,"",@progbits
; Kernel info:
; codeLenInByte = 344
; NumSgprs: 16
; NumVgprs: 5
; NumAgprs: 0
; TotalNumVgprs: 5
; ScratchSize: 0
; MemoryBound: 0
; FloatMode: 240
; IeeeMode: 1
; LDSByteSize: 2048 bytes/workgroup (compile time only)
; SGPRBlocks: 1
; VGPRBlocks: 0
; NumSGPRsForWavesPerEU: 16
; NumVGPRsForWavesPerEU: 5
; AccumOffset: 8
; Occupancy: 8
; WaveLimiterHint : 0
; COMPUTE_PGM_RSRC2:SCRATCH_EN: 0
; COMPUTE_PGM_RSRC2:USER_SGPR: 6
; COMPUTE_PGM_RSRC2:TRAP_HANDLER: 0
; COMPUTE_PGM_RSRC2:TGID_X_EN: 1
; COMPUTE_PGM_RSRC2:TGID_Y_EN: 0
; COMPUTE_PGM_RSRC2:TGID_Z_EN: 0
; COMPUTE_PGM_RSRC2:TIDIG_COMP_CNT: 0
; COMPUTE_PGM_RSRC3_GFX90A:ACCUM_OFFSET: 1
; COMPUTE_PGM_RSRC3_GFX90A:TG_SPLIT: 0
	.section	.text._Z17flag_tails_kernelIccN10test_utils10less_equalELj1024ELj1EEvPT_Px,"axG",@progbits,_Z17flag_tails_kernelIccN10test_utils10less_equalELj1024ELj1EEvPT_Px,comdat
	.protected	_Z17flag_tails_kernelIccN10test_utils10less_equalELj1024ELj1EEvPT_Px ; -- Begin function _Z17flag_tails_kernelIccN10test_utils10less_equalELj1024ELj1EEvPT_Px
	.globl	_Z17flag_tails_kernelIccN10test_utils10less_equalELj1024ELj1EEvPT_Px
	.p2align	8
	.type	_Z17flag_tails_kernelIccN10test_utils10less_equalELj1024ELj1EEvPT_Px,@function
_Z17flag_tails_kernelIccN10test_utils10less_equalELj1024ELj1EEvPT_Px: ; @_Z17flag_tails_kernelIccN10test_utils10less_equalELj1024ELj1EEvPT_Px
; %bb.0:
	s_load_dwordx4 s[0:3], s[4:5], 0x0
	s_lshl_b32 s4, s6, 10
	s_mov_b32 s5, 0
	s_waitcnt lgkmcnt(0)
	s_add_u32 s0, s0, s4
	s_addc_u32 s1, s1, 0
	global_load_sbyte v1, v0, s[0:1]
	s_bitcmp1_b32 s6, 0
	s_cselect_b64 s[6:7], -1, 0
	s_and_b64 vcc, exec, s[6:7]
	s_cbranch_vccz .LBB42_4
; %bb.1:
	s_movk_i32 s6, 0x3ff
	v_cmp_ne_u32_e32 vcc, s6, v0
	s_mov_b64 s[6:7], -1
	s_waitcnt vmcnt(0)
	ds_write_b8 v0, v1 offset:1024
	s_waitcnt lgkmcnt(0)
	s_barrier
	s_and_saveexec_b64 s[8:9], vcc
	s_cbranch_execz .LBB42_3
; %bb.2:
	ds_read_i8 v2, v0 offset:1025
	s_waitcnt lgkmcnt(0)
	v_cmp_le_i16_e32 vcc, v2, v1
	s_orn2_b64 s[6:7], vcc, exec
.LBB42_3:
	s_or_b64 exec, exec, s[8:9]
	s_cbranch_execz .LBB42_5
	s_branch .LBB42_8
.LBB42_4:
                                        ; implicit-def: $sgpr6_sgpr7
.LBB42_5:
	v_mov_b32_e32 v2, 0
	global_load_ubyte v2, v2, s[0:1] offset:1024
	s_movk_i32 s0, 0x3ff
	v_cmp_ne_u32_e32 vcc, s0, v0
	s_waitcnt vmcnt(1)
	ds_write_b8 v0, v1 offset:1024
	s_waitcnt lgkmcnt(0)
	s_barrier
	s_and_saveexec_b64 s[0:1], vcc
	s_cbranch_execz .LBB42_7
; %bb.6:
	s_waitcnt vmcnt(0)
	ds_read_u8 v2, v0 offset:1025
.LBB42_7:
	s_or_b64 exec, exec, s[0:1]
	s_waitcnt vmcnt(0) lgkmcnt(0)
	v_cmp_le_i16_sdwa s[6:7], sext(v2), v1 src0_sel:BYTE_0 src1_sel:DWORD
.LBB42_8:
	s_lshl_b64 s[0:1], s[4:5], 3
	s_add_u32 s0, s2, s0
	s_mov_b32 s2, 0
	s_addc_u32 s1, s3, s1
	v_lshlrev_b32_e32 v2, 3, v0
	v_cndmask_b32_e64 v0, 0, 1, s[6:7]
	s_waitcnt vmcnt(0)
	v_mov_b32_e32 v1, s2
	global_store_dwordx2 v2, v[0:1], s[0:1]
	s_endpgm
	.section	.rodata,"a",@progbits
	.p2align	6, 0x0
	.amdhsa_kernel _Z17flag_tails_kernelIccN10test_utils10less_equalELj1024ELj1EEvPT_Px
		.amdhsa_group_segment_fixed_size 2048
		.amdhsa_private_segment_fixed_size 0
		.amdhsa_kernarg_size 16
		.amdhsa_user_sgpr_count 6
		.amdhsa_user_sgpr_private_segment_buffer 1
		.amdhsa_user_sgpr_dispatch_ptr 0
		.amdhsa_user_sgpr_queue_ptr 0
		.amdhsa_user_sgpr_kernarg_segment_ptr 1
		.amdhsa_user_sgpr_dispatch_id 0
		.amdhsa_user_sgpr_flat_scratch_init 0
		.amdhsa_user_sgpr_kernarg_preload_length 0
		.amdhsa_user_sgpr_kernarg_preload_offset 0
		.amdhsa_user_sgpr_private_segment_size 0
		.amdhsa_uses_dynamic_stack 0
		.amdhsa_system_sgpr_private_segment_wavefront_offset 0
		.amdhsa_system_sgpr_workgroup_id_x 1
		.amdhsa_system_sgpr_workgroup_id_y 0
		.amdhsa_system_sgpr_workgroup_id_z 0
		.amdhsa_system_sgpr_workgroup_info 0
		.amdhsa_system_vgpr_workitem_id 0
		.amdhsa_next_free_vgpr 3
		.amdhsa_next_free_sgpr 10
		.amdhsa_accum_offset 4
		.amdhsa_reserve_vcc 1
		.amdhsa_reserve_flat_scratch 0
		.amdhsa_float_round_mode_32 0
		.amdhsa_float_round_mode_16_64 0
		.amdhsa_float_denorm_mode_32 3
		.amdhsa_float_denorm_mode_16_64 3
		.amdhsa_dx10_clamp 1
		.amdhsa_ieee_mode 1
		.amdhsa_fp16_overflow 0
		.amdhsa_tg_split 0
		.amdhsa_exception_fp_ieee_invalid_op 0
		.amdhsa_exception_fp_denorm_src 0
		.amdhsa_exception_fp_ieee_div_zero 0
		.amdhsa_exception_fp_ieee_overflow 0
		.amdhsa_exception_fp_ieee_underflow 0
		.amdhsa_exception_fp_ieee_inexact 0
		.amdhsa_exception_int_div_zero 0
	.end_amdhsa_kernel
	.section	.text._Z17flag_tails_kernelIccN10test_utils10less_equalELj1024ELj1EEvPT_Px,"axG",@progbits,_Z17flag_tails_kernelIccN10test_utils10less_equalELj1024ELj1EEvPT_Px,comdat
.Lfunc_end42:
	.size	_Z17flag_tails_kernelIccN10test_utils10less_equalELj1024ELj1EEvPT_Px, .Lfunc_end42-_Z17flag_tails_kernelIccN10test_utils10less_equalELj1024ELj1EEvPT_Px
                                        ; -- End function
	.section	.AMDGPU.csdata,"",@progbits
; Kernel info:
; codeLenInByte = 248
; NumSgprs: 14
; NumVgprs: 3
; NumAgprs: 0
; TotalNumVgprs: 3
; ScratchSize: 0
; MemoryBound: 0
; FloatMode: 240
; IeeeMode: 1
; LDSByteSize: 2048 bytes/workgroup (compile time only)
; SGPRBlocks: 1
; VGPRBlocks: 0
; NumSGPRsForWavesPerEU: 14
; NumVGPRsForWavesPerEU: 3
; AccumOffset: 4
; Occupancy: 8
; WaveLimiterHint : 0
; COMPUTE_PGM_RSRC2:SCRATCH_EN: 0
; COMPUTE_PGM_RSRC2:USER_SGPR: 6
; COMPUTE_PGM_RSRC2:TRAP_HANDLER: 0
; COMPUTE_PGM_RSRC2:TGID_X_EN: 1
; COMPUTE_PGM_RSRC2:TGID_Y_EN: 0
; COMPUTE_PGM_RSRC2:TGID_Z_EN: 0
; COMPUTE_PGM_RSRC2:TIDIG_COMP_CNT: 0
; COMPUTE_PGM_RSRC3_GFX90A:ACCUM_OFFSET: 0
; COMPUTE_PGM_RSRC3_GFX90A:TG_SPLIT: 0
	.section	.text._Z17flag_tails_kernelI12hip_bfloat16iN10test_utils4lessELj256ELj1EEvPT_Px,"axG",@progbits,_Z17flag_tails_kernelI12hip_bfloat16iN10test_utils4lessELj256ELj1EEvPT_Px,comdat
	.protected	_Z17flag_tails_kernelI12hip_bfloat16iN10test_utils4lessELj256ELj1EEvPT_Px ; -- Begin function _Z17flag_tails_kernelI12hip_bfloat16iN10test_utils4lessELj256ELj1EEvPT_Px
	.globl	_Z17flag_tails_kernelI12hip_bfloat16iN10test_utils4lessELj256ELj1EEvPT_Px
	.p2align	8
	.type	_Z17flag_tails_kernelI12hip_bfloat16iN10test_utils4lessELj256ELj1EEvPT_Px,@function
_Z17flag_tails_kernelI12hip_bfloat16iN10test_utils4lessELj256ELj1EEvPT_Px: ; @_Z17flag_tails_kernelI12hip_bfloat16iN10test_utils4lessELj256ELj1EEvPT_Px
; %bb.0:
	s_load_dwordx4 s[0:3], s[4:5], 0x0
	s_lshl_b32 s4, s6, 8
	s_mov_b32 s5, 0
	s_lshl_b64 s[8:9], s[4:5], 1
	v_lshlrev_b32_e32 v2, 1, v0
	s_waitcnt lgkmcnt(0)
	s_add_u32 s0, s0, s8
	s_addc_u32 s1, s1, s9
	global_load_ushort v1, v2, s[0:1]
	s_bitcmp1_b32 s6, 0
	s_cselect_b64 s[6:7], -1, 0
	s_and_b64 vcc, exec, s[6:7]
	s_cbranch_vccz .LBB43_4
; %bb.1:
	s_movk_i32 s6, 0xff
	v_cmp_ne_u32_e32 vcc, s6, v0
	s_mov_b64 s[6:7], -1
	s_waitcnt vmcnt(0)
	ds_write_b16 v2, v1 offset:512
	s_waitcnt lgkmcnt(0)
	s_barrier
	s_and_saveexec_b64 s[8:9], vcc
	s_cbranch_execz .LBB43_3
; %bb.2:
	ds_read_u16 v3, v2 offset:514
	v_lshlrev_b32_e32 v4, 16, v1
	s_waitcnt lgkmcnt(0)
	v_lshlrev_b32_e32 v3, 16, v3
	v_cmp_lt_f32_e32 vcc, v3, v4
	s_orn2_b64 s[6:7], vcc, exec
.LBB43_3:
	s_or_b64 exec, exec, s[8:9]
	s_cbranch_execz .LBB43_5
	s_branch .LBB43_8
.LBB43_4:
                                        ; implicit-def: $sgpr6_sgpr7
.LBB43_5:
	v_mov_b32_e32 v3, 0
	global_load_ushort v3, v3, s[0:1] offset:512
	s_movk_i32 s0, 0xff
	v_cmp_ne_u32_e32 vcc, s0, v0
	s_waitcnt vmcnt(1)
	ds_write_b16 v2, v1 offset:512
	s_waitcnt lgkmcnt(0)
	s_barrier
	s_and_saveexec_b64 s[0:1], vcc
	s_cbranch_execz .LBB43_7
; %bb.6:
	s_waitcnt vmcnt(0)
	ds_read_u16 v3, v2 offset:514
.LBB43_7:
	s_or_b64 exec, exec, s[0:1]
	v_lshlrev_b32_e32 v1, 16, v1
	s_waitcnt vmcnt(0) lgkmcnt(0)
	v_lshlrev_b32_e32 v2, 16, v3
	v_cmp_lt_f32_e64 s[6:7], v2, v1
.LBB43_8:
	s_lshl_b64 s[0:1], s[4:5], 3
	s_add_u32 s0, s2, s0
	s_mov_b32 s2, 0
	s_addc_u32 s1, s3, s1
	v_lshlrev_b32_e32 v2, 3, v0
	v_cndmask_b32_e64 v0, 0, 1, s[6:7]
	s_waitcnt vmcnt(0)
	v_mov_b32_e32 v1, s2
	global_store_dwordx2 v2, v[0:1], s[0:1]
	s_endpgm
	.section	.rodata,"a",@progbits
	.p2align	6, 0x0
	.amdhsa_kernel _Z17flag_tails_kernelI12hip_bfloat16iN10test_utils4lessELj256ELj1EEvPT_Px
		.amdhsa_group_segment_fixed_size 1024
		.amdhsa_private_segment_fixed_size 0
		.amdhsa_kernarg_size 16
		.amdhsa_user_sgpr_count 6
		.amdhsa_user_sgpr_private_segment_buffer 1
		.amdhsa_user_sgpr_dispatch_ptr 0
		.amdhsa_user_sgpr_queue_ptr 0
		.amdhsa_user_sgpr_kernarg_segment_ptr 1
		.amdhsa_user_sgpr_dispatch_id 0
		.amdhsa_user_sgpr_flat_scratch_init 0
		.amdhsa_user_sgpr_kernarg_preload_length 0
		.amdhsa_user_sgpr_kernarg_preload_offset 0
		.amdhsa_user_sgpr_private_segment_size 0
		.amdhsa_uses_dynamic_stack 0
		.amdhsa_system_sgpr_private_segment_wavefront_offset 0
		.amdhsa_system_sgpr_workgroup_id_x 1
		.amdhsa_system_sgpr_workgroup_id_y 0
		.amdhsa_system_sgpr_workgroup_id_z 0
		.amdhsa_system_sgpr_workgroup_info 0
		.amdhsa_system_vgpr_workitem_id 0
		.amdhsa_next_free_vgpr 5
		.amdhsa_next_free_sgpr 10
		.amdhsa_accum_offset 8
		.amdhsa_reserve_vcc 1
		.amdhsa_reserve_flat_scratch 0
		.amdhsa_float_round_mode_32 0
		.amdhsa_float_round_mode_16_64 0
		.amdhsa_float_denorm_mode_32 3
		.amdhsa_float_denorm_mode_16_64 3
		.amdhsa_dx10_clamp 1
		.amdhsa_ieee_mode 1
		.amdhsa_fp16_overflow 0
		.amdhsa_tg_split 0
		.amdhsa_exception_fp_ieee_invalid_op 0
		.amdhsa_exception_fp_denorm_src 0
		.amdhsa_exception_fp_ieee_div_zero 0
		.amdhsa_exception_fp_ieee_overflow 0
		.amdhsa_exception_fp_ieee_underflow 0
		.amdhsa_exception_fp_ieee_inexact 0
		.amdhsa_exception_int_div_zero 0
	.end_amdhsa_kernel
	.section	.text._Z17flag_tails_kernelI12hip_bfloat16iN10test_utils4lessELj256ELj1EEvPT_Px,"axG",@progbits,_Z17flag_tails_kernelI12hip_bfloat16iN10test_utils4lessELj256ELj1EEvPT_Px,comdat
.Lfunc_end43:
	.size	_Z17flag_tails_kernelI12hip_bfloat16iN10test_utils4lessELj256ELj1EEvPT_Px, .Lfunc_end43-_Z17flag_tails_kernelI12hip_bfloat16iN10test_utils4lessELj256ELj1EEvPT_Px
                                        ; -- End function
	.section	.AMDGPU.csdata,"",@progbits
; Kernel info:
; codeLenInByte = 272
; NumSgprs: 14
; NumVgprs: 5
; NumAgprs: 0
; TotalNumVgprs: 5
; ScratchSize: 0
; MemoryBound: 0
; FloatMode: 240
; IeeeMode: 1
; LDSByteSize: 1024 bytes/workgroup (compile time only)
; SGPRBlocks: 1
; VGPRBlocks: 0
; NumSGPRsForWavesPerEU: 14
; NumVGPRsForWavesPerEU: 5
; AccumOffset: 8
; Occupancy: 8
; WaveLimiterHint : 0
; COMPUTE_PGM_RSRC2:SCRATCH_EN: 0
; COMPUTE_PGM_RSRC2:USER_SGPR: 6
; COMPUTE_PGM_RSRC2:TRAP_HANDLER: 0
; COMPUTE_PGM_RSRC2:TGID_X_EN: 1
; COMPUTE_PGM_RSRC2:TGID_Y_EN: 0
; COMPUTE_PGM_RSRC2:TGID_Z_EN: 0
; COMPUTE_PGM_RSRC2:TIDIG_COMP_CNT: 0
; COMPUTE_PGM_RSRC3_GFX90A:ACCUM_OFFSET: 1
; COMPUTE_PGM_RSRC3_GFX90A:TG_SPLIT: 0
	.section	.text._Z17flag_tails_kernelI6__halfiN10test_utils4lessELj256ELj1EEvPT_Px,"axG",@progbits,_Z17flag_tails_kernelI6__halfiN10test_utils4lessELj256ELj1EEvPT_Px,comdat
	.protected	_Z17flag_tails_kernelI6__halfiN10test_utils4lessELj256ELj1EEvPT_Px ; -- Begin function _Z17flag_tails_kernelI6__halfiN10test_utils4lessELj256ELj1EEvPT_Px
	.globl	_Z17flag_tails_kernelI6__halfiN10test_utils4lessELj256ELj1EEvPT_Px
	.p2align	8
	.type	_Z17flag_tails_kernelI6__halfiN10test_utils4lessELj256ELj1EEvPT_Px,@function
_Z17flag_tails_kernelI6__halfiN10test_utils4lessELj256ELj1EEvPT_Px: ; @_Z17flag_tails_kernelI6__halfiN10test_utils4lessELj256ELj1EEvPT_Px
; %bb.0:
	s_load_dwordx4 s[0:3], s[4:5], 0x0
	s_lshl_b32 s4, s6, 8
	s_mov_b32 s5, 0
	s_lshl_b64 s[8:9], s[4:5], 1
	v_lshlrev_b32_e32 v2, 1, v0
	s_waitcnt lgkmcnt(0)
	s_add_u32 s0, s0, s8
	s_addc_u32 s1, s1, s9
	global_load_ushort v1, v2, s[0:1]
	s_bitcmp1_b32 s6, 0
	s_cselect_b64 s[6:7], -1, 0
	s_and_b64 vcc, exec, s[6:7]
	s_cbranch_vccz .LBB44_4
; %bb.1:
	s_movk_i32 s6, 0xff
	v_cmp_ne_u32_e32 vcc, s6, v0
	s_mov_b64 s[6:7], -1
	s_waitcnt vmcnt(0)
	ds_write_b16 v2, v1 offset:512
	s_waitcnt lgkmcnt(0)
	s_barrier
	s_and_saveexec_b64 s[8:9], vcc
	s_cbranch_execz .LBB44_3
; %bb.2:
	ds_read_u16 v3, v2 offset:514
	s_waitcnt lgkmcnt(0)
	v_cmp_lt_f16_e32 vcc, v3, v1
	s_orn2_b64 s[6:7], vcc, exec
.LBB44_3:
	s_or_b64 exec, exec, s[8:9]
	s_cbranch_execz .LBB44_5
	s_branch .LBB44_8
.LBB44_4:
                                        ; implicit-def: $sgpr6_sgpr7
.LBB44_5:
	v_mov_b32_e32 v3, 0
	global_load_ushort v3, v3, s[0:1] offset:512
	s_movk_i32 s0, 0xff
	v_cmp_ne_u32_e32 vcc, s0, v0
	s_waitcnt vmcnt(1)
	ds_write_b16 v2, v1 offset:512
	s_waitcnt lgkmcnt(0)
	s_barrier
	s_and_saveexec_b64 s[0:1], vcc
	s_cbranch_execz .LBB44_7
; %bb.6:
	s_waitcnt vmcnt(0)
	ds_read_u16 v3, v2 offset:514
.LBB44_7:
	s_or_b64 exec, exec, s[0:1]
	s_waitcnt vmcnt(0) lgkmcnt(0)
	v_cmp_lt_f16_e64 s[6:7], v3, v1
.LBB44_8:
	s_lshl_b64 s[0:1], s[4:5], 3
	s_add_u32 s0, s2, s0
	s_mov_b32 s2, 0
	s_addc_u32 s1, s3, s1
	v_lshlrev_b32_e32 v2, 3, v0
	v_cndmask_b32_e64 v0, 0, 1, s[6:7]
	s_waitcnt vmcnt(0)
	v_mov_b32_e32 v1, s2
	global_store_dwordx2 v2, v[0:1], s[0:1]
	s_endpgm
	.section	.rodata,"a",@progbits
	.p2align	6, 0x0
	.amdhsa_kernel _Z17flag_tails_kernelI6__halfiN10test_utils4lessELj256ELj1EEvPT_Px
		.amdhsa_group_segment_fixed_size 1024
		.amdhsa_private_segment_fixed_size 0
		.amdhsa_kernarg_size 16
		.amdhsa_user_sgpr_count 6
		.amdhsa_user_sgpr_private_segment_buffer 1
		.amdhsa_user_sgpr_dispatch_ptr 0
		.amdhsa_user_sgpr_queue_ptr 0
		.amdhsa_user_sgpr_kernarg_segment_ptr 1
		.amdhsa_user_sgpr_dispatch_id 0
		.amdhsa_user_sgpr_flat_scratch_init 0
		.amdhsa_user_sgpr_kernarg_preload_length 0
		.amdhsa_user_sgpr_kernarg_preload_offset 0
		.amdhsa_user_sgpr_private_segment_size 0
		.amdhsa_uses_dynamic_stack 0
		.amdhsa_system_sgpr_private_segment_wavefront_offset 0
		.amdhsa_system_sgpr_workgroup_id_x 1
		.amdhsa_system_sgpr_workgroup_id_y 0
		.amdhsa_system_sgpr_workgroup_id_z 0
		.amdhsa_system_sgpr_workgroup_info 0
		.amdhsa_system_vgpr_workitem_id 0
		.amdhsa_next_free_vgpr 4
		.amdhsa_next_free_sgpr 10
		.amdhsa_accum_offset 4
		.amdhsa_reserve_vcc 1
		.amdhsa_reserve_flat_scratch 0
		.amdhsa_float_round_mode_32 0
		.amdhsa_float_round_mode_16_64 0
		.amdhsa_float_denorm_mode_32 3
		.amdhsa_float_denorm_mode_16_64 3
		.amdhsa_dx10_clamp 1
		.amdhsa_ieee_mode 1
		.amdhsa_fp16_overflow 0
		.amdhsa_tg_split 0
		.amdhsa_exception_fp_ieee_invalid_op 0
		.amdhsa_exception_fp_denorm_src 0
		.amdhsa_exception_fp_ieee_div_zero 0
		.amdhsa_exception_fp_ieee_overflow 0
		.amdhsa_exception_fp_ieee_underflow 0
		.amdhsa_exception_fp_ieee_inexact 0
		.amdhsa_exception_int_div_zero 0
	.end_amdhsa_kernel
	.section	.text._Z17flag_tails_kernelI6__halfiN10test_utils4lessELj256ELj1EEvPT_Px,"axG",@progbits,_Z17flag_tails_kernelI6__halfiN10test_utils4lessELj256ELj1EEvPT_Px,comdat
.Lfunc_end44:
	.size	_Z17flag_tails_kernelI6__halfiN10test_utils4lessELj256ELj1EEvPT_Px, .Lfunc_end44-_Z17flag_tails_kernelI6__halfiN10test_utils4lessELj256ELj1EEvPT_Px
                                        ; -- End function
	.section	.AMDGPU.csdata,"",@progbits
; Kernel info:
; codeLenInByte = 256
; NumSgprs: 14
; NumVgprs: 4
; NumAgprs: 0
; TotalNumVgprs: 4
; ScratchSize: 0
; MemoryBound: 0
; FloatMode: 240
; IeeeMode: 1
; LDSByteSize: 1024 bytes/workgroup (compile time only)
; SGPRBlocks: 1
; VGPRBlocks: 0
; NumSGPRsForWavesPerEU: 14
; NumVGPRsForWavesPerEU: 4
; AccumOffset: 4
; Occupancy: 8
; WaveLimiterHint : 0
; COMPUTE_PGM_RSRC2:SCRATCH_EN: 0
; COMPUTE_PGM_RSRC2:USER_SGPR: 6
; COMPUTE_PGM_RSRC2:TRAP_HANDLER: 0
; COMPUTE_PGM_RSRC2:TGID_X_EN: 1
; COMPUTE_PGM_RSRC2:TGID_Y_EN: 0
; COMPUTE_PGM_RSRC2:TGID_Z_EN: 0
; COMPUTE_PGM_RSRC2:TIDIG_COMP_CNT: 0
; COMPUTE_PGM_RSRC3_GFX90A:ACCUM_OFFSET: 0
; COMPUTE_PGM_RSRC3_GFX90A:TG_SPLIT: 0
	.section	.text._Z17flag_tails_kernelIfiN10test_utils4lessELj256ELj1EEvPT_Px,"axG",@progbits,_Z17flag_tails_kernelIfiN10test_utils4lessELj256ELj1EEvPT_Px,comdat
	.protected	_Z17flag_tails_kernelIfiN10test_utils4lessELj256ELj1EEvPT_Px ; -- Begin function _Z17flag_tails_kernelIfiN10test_utils4lessELj256ELj1EEvPT_Px
	.globl	_Z17flag_tails_kernelIfiN10test_utils4lessELj256ELj1EEvPT_Px
	.p2align	8
	.type	_Z17flag_tails_kernelIfiN10test_utils4lessELj256ELj1EEvPT_Px,@function
_Z17flag_tails_kernelIfiN10test_utils4lessELj256ELj1EEvPT_Px: ; @_Z17flag_tails_kernelIfiN10test_utils4lessELj256ELj1EEvPT_Px
; %bb.0:
	s_load_dwordx4 s[0:3], s[4:5], 0x0
	s_lshl_b32 s4, s6, 8
	s_mov_b32 s5, 0
	s_lshl_b64 s[8:9], s[4:5], 2
	v_lshlrev_b32_e32 v2, 2, v0
	s_waitcnt lgkmcnt(0)
	s_add_u32 s0, s0, s8
	s_addc_u32 s1, s1, s9
	global_load_dword v1, v2, s[0:1]
	s_bitcmp1_b32 s6, 0
	s_cselect_b64 s[6:7], -1, 0
	s_and_b64 vcc, exec, s[6:7]
	s_cbranch_vccz .LBB45_4
; %bb.1:
	s_movk_i32 s6, 0xff
	v_cmp_ne_u32_e32 vcc, s6, v0
	s_mov_b64 s[6:7], -1
	s_waitcnt vmcnt(0)
	ds_write_b32 v2, v1 offset:1024
	s_waitcnt lgkmcnt(0)
	s_barrier
	s_and_saveexec_b64 s[8:9], vcc
	s_cbranch_execz .LBB45_3
; %bb.2:
	ds_read_b32 v3, v2 offset:1028
	s_waitcnt lgkmcnt(0)
	v_cmp_lt_f32_e32 vcc, v3, v1
	s_orn2_b64 s[6:7], vcc, exec
.LBB45_3:
	s_or_b64 exec, exec, s[8:9]
	s_cbranch_execz .LBB45_5
	s_branch .LBB45_8
.LBB45_4:
                                        ; implicit-def: $sgpr6_sgpr7
.LBB45_5:
	s_load_dword s0, s[0:1], 0x400
	s_movk_i32 s1, 0xff
	v_cmp_ne_u32_e32 vcc, s1, v0
	s_waitcnt vmcnt(0)
	ds_write_b32 v2, v1 offset:1024
	s_waitcnt lgkmcnt(0)
	v_mov_b32_e32 v3, s0
	s_barrier
	s_and_saveexec_b64 s[0:1], vcc
	s_cbranch_execz .LBB45_7
; %bb.6:
	ds_read_b32 v3, v2 offset:1028
.LBB45_7:
	s_or_b64 exec, exec, s[0:1]
	s_waitcnt lgkmcnt(0)
	v_cmp_lt_f32_e64 s[6:7], v3, v1
.LBB45_8:
	s_lshl_b64 s[0:1], s[4:5], 3
	s_add_u32 s0, s2, s0
	s_mov_b32 s2, 0
	s_addc_u32 s1, s3, s1
	v_lshlrev_b32_e32 v2, 3, v0
	v_cndmask_b32_e64 v0, 0, 1, s[6:7]
	s_waitcnt vmcnt(0)
	v_mov_b32_e32 v1, s2
	global_store_dwordx2 v2, v[0:1], s[0:1]
	s_endpgm
	.section	.rodata,"a",@progbits
	.p2align	6, 0x0
	.amdhsa_kernel _Z17flag_tails_kernelIfiN10test_utils4lessELj256ELj1EEvPT_Px
		.amdhsa_group_segment_fixed_size 2048
		.amdhsa_private_segment_fixed_size 0
		.amdhsa_kernarg_size 16
		.amdhsa_user_sgpr_count 6
		.amdhsa_user_sgpr_private_segment_buffer 1
		.amdhsa_user_sgpr_dispatch_ptr 0
		.amdhsa_user_sgpr_queue_ptr 0
		.amdhsa_user_sgpr_kernarg_segment_ptr 1
		.amdhsa_user_sgpr_dispatch_id 0
		.amdhsa_user_sgpr_flat_scratch_init 0
		.amdhsa_user_sgpr_kernarg_preload_length 0
		.amdhsa_user_sgpr_kernarg_preload_offset 0
		.amdhsa_user_sgpr_private_segment_size 0
		.amdhsa_uses_dynamic_stack 0
		.amdhsa_system_sgpr_private_segment_wavefront_offset 0
		.amdhsa_system_sgpr_workgroup_id_x 1
		.amdhsa_system_sgpr_workgroup_id_y 0
		.amdhsa_system_sgpr_workgroup_id_z 0
		.amdhsa_system_sgpr_workgroup_info 0
		.amdhsa_system_vgpr_workitem_id 0
		.amdhsa_next_free_vgpr 4
		.amdhsa_next_free_sgpr 10
		.amdhsa_accum_offset 4
		.amdhsa_reserve_vcc 1
		.amdhsa_reserve_flat_scratch 0
		.amdhsa_float_round_mode_32 0
		.amdhsa_float_round_mode_16_64 0
		.amdhsa_float_denorm_mode_32 3
		.amdhsa_float_denorm_mode_16_64 3
		.amdhsa_dx10_clamp 1
		.amdhsa_ieee_mode 1
		.amdhsa_fp16_overflow 0
		.amdhsa_tg_split 0
		.amdhsa_exception_fp_ieee_invalid_op 0
		.amdhsa_exception_fp_denorm_src 0
		.amdhsa_exception_fp_ieee_div_zero 0
		.amdhsa_exception_fp_ieee_overflow 0
		.amdhsa_exception_fp_ieee_underflow 0
		.amdhsa_exception_fp_ieee_inexact 0
		.amdhsa_exception_int_div_zero 0
	.end_amdhsa_kernel
	.section	.text._Z17flag_tails_kernelIfiN10test_utils4lessELj256ELj1EEvPT_Px,"axG",@progbits,_Z17flag_tails_kernelIfiN10test_utils4lessELj256ELj1EEvPT_Px,comdat
.Lfunc_end45:
	.size	_Z17flag_tails_kernelIfiN10test_utils4lessELj256ELj1EEvPT_Px, .Lfunc_end45-_Z17flag_tails_kernelIfiN10test_utils4lessELj256ELj1EEvPT_Px
                                        ; -- End function
	.section	.AMDGPU.csdata,"",@progbits
; Kernel info:
; codeLenInByte = 252
; NumSgprs: 14
; NumVgprs: 4
; NumAgprs: 0
; TotalNumVgprs: 4
; ScratchSize: 0
; MemoryBound: 0
; FloatMode: 240
; IeeeMode: 1
; LDSByteSize: 2048 bytes/workgroup (compile time only)
; SGPRBlocks: 1
; VGPRBlocks: 0
; NumSGPRsForWavesPerEU: 14
; NumVGPRsForWavesPerEU: 4
; AccumOffset: 4
; Occupancy: 8
; WaveLimiterHint : 0
; COMPUTE_PGM_RSRC2:SCRATCH_EN: 0
; COMPUTE_PGM_RSRC2:USER_SGPR: 6
; COMPUTE_PGM_RSRC2:TRAP_HANDLER: 0
; COMPUTE_PGM_RSRC2:TGID_X_EN: 1
; COMPUTE_PGM_RSRC2:TGID_Y_EN: 0
; COMPUTE_PGM_RSRC2:TGID_Z_EN: 0
; COMPUTE_PGM_RSRC2:TIDIG_COMP_CNT: 0
; COMPUTE_PGM_RSRC3_GFX90A:ACCUM_OFFSET: 0
; COMPUTE_PGM_RSRC3_GFX90A:TG_SPLIT: 0
	.section	.text._Z17flag_tails_kernelIibN6hipcub10InequalityELj128ELj1EEvPT_Px,"axG",@progbits,_Z17flag_tails_kernelIibN6hipcub10InequalityELj128ELj1EEvPT_Px,comdat
	.protected	_Z17flag_tails_kernelIibN6hipcub10InequalityELj128ELj1EEvPT_Px ; -- Begin function _Z17flag_tails_kernelIibN6hipcub10InequalityELj128ELj1EEvPT_Px
	.globl	_Z17flag_tails_kernelIibN6hipcub10InequalityELj128ELj1EEvPT_Px
	.p2align	8
	.type	_Z17flag_tails_kernelIibN6hipcub10InequalityELj128ELj1EEvPT_Px,@function
_Z17flag_tails_kernelIibN6hipcub10InequalityELj128ELj1EEvPT_Px: ; @_Z17flag_tails_kernelIibN6hipcub10InequalityELj128ELj1EEvPT_Px
; %bb.0:
	s_load_dwordx4 s[0:3], s[4:5], 0x0
	s_lshl_b32 s4, s6, 7
	s_mov_b32 s5, 0
	s_lshl_b64 s[8:9], s[4:5], 2
	v_lshlrev_b32_e32 v2, 2, v0
	s_waitcnt lgkmcnt(0)
	s_add_u32 s0, s0, s8
	s_addc_u32 s1, s1, s9
	global_load_dword v1, v2, s[0:1]
	s_bitcmp1_b32 s6, 0
	s_cselect_b64 s[6:7], -1, 0
	s_and_b64 vcc, exec, s[6:7]
	s_cbranch_vccz .LBB46_4
; %bb.1:
	s_movk_i32 s6, 0x7f
	v_cmp_ne_u32_e32 vcc, s6, v0
	s_mov_b64 s[6:7], -1
	s_waitcnt vmcnt(0)
	ds_write_b32 v2, v1 offset:512
	s_waitcnt lgkmcnt(0)
	s_barrier
	s_and_saveexec_b64 s[8:9], vcc
	s_cbranch_execz .LBB46_3
; %bb.2:
	ds_read_b32 v3, v2 offset:516
	s_waitcnt lgkmcnt(0)
	v_cmp_ne_u32_e32 vcc, v3, v1
	s_orn2_b64 s[6:7], vcc, exec
.LBB46_3:
	s_or_b64 exec, exec, s[8:9]
	s_cbranch_execz .LBB46_5
	s_branch .LBB46_8
.LBB46_4:
                                        ; implicit-def: $sgpr6_sgpr7
.LBB46_5:
	s_load_dword s0, s[0:1], 0x200
	s_movk_i32 s1, 0x7f
	v_cmp_ne_u32_e32 vcc, s1, v0
	s_waitcnt vmcnt(0)
	ds_write_b32 v2, v1 offset:512
	s_waitcnt lgkmcnt(0)
	v_mov_b32_e32 v3, s0
	s_barrier
	s_and_saveexec_b64 s[0:1], vcc
	s_cbranch_execz .LBB46_7
; %bb.6:
	ds_read_b32 v3, v2 offset:516
.LBB46_7:
	s_or_b64 exec, exec, s[0:1]
	s_waitcnt lgkmcnt(0)
	v_cmp_ne_u32_e64 s[6:7], v3, v1
.LBB46_8:
	s_lshl_b64 s[0:1], s[4:5], 3
	s_add_u32 s0, s2, s0
	s_mov_b32 s2, 0
	s_addc_u32 s1, s3, s1
	v_lshlrev_b32_e32 v2, 3, v0
	v_cndmask_b32_e64 v0, 0, 1, s[6:7]
	s_waitcnt vmcnt(0)
	v_mov_b32_e32 v1, s2
	global_store_dwordx2 v2, v[0:1], s[0:1]
	s_endpgm
	.section	.rodata,"a",@progbits
	.p2align	6, 0x0
	.amdhsa_kernel _Z17flag_tails_kernelIibN6hipcub10InequalityELj128ELj1EEvPT_Px
		.amdhsa_group_segment_fixed_size 1024
		.amdhsa_private_segment_fixed_size 0
		.amdhsa_kernarg_size 16
		.amdhsa_user_sgpr_count 6
		.amdhsa_user_sgpr_private_segment_buffer 1
		.amdhsa_user_sgpr_dispatch_ptr 0
		.amdhsa_user_sgpr_queue_ptr 0
		.amdhsa_user_sgpr_kernarg_segment_ptr 1
		.amdhsa_user_sgpr_dispatch_id 0
		.amdhsa_user_sgpr_flat_scratch_init 0
		.amdhsa_user_sgpr_kernarg_preload_length 0
		.amdhsa_user_sgpr_kernarg_preload_offset 0
		.amdhsa_user_sgpr_private_segment_size 0
		.amdhsa_uses_dynamic_stack 0
		.amdhsa_system_sgpr_private_segment_wavefront_offset 0
		.amdhsa_system_sgpr_workgroup_id_x 1
		.amdhsa_system_sgpr_workgroup_id_y 0
		.amdhsa_system_sgpr_workgroup_id_z 0
		.amdhsa_system_sgpr_workgroup_info 0
		.amdhsa_system_vgpr_workitem_id 0
		.amdhsa_next_free_vgpr 4
		.amdhsa_next_free_sgpr 10
		.amdhsa_accum_offset 4
		.amdhsa_reserve_vcc 1
		.amdhsa_reserve_flat_scratch 0
		.amdhsa_float_round_mode_32 0
		.amdhsa_float_round_mode_16_64 0
		.amdhsa_float_denorm_mode_32 3
		.amdhsa_float_denorm_mode_16_64 3
		.amdhsa_dx10_clamp 1
		.amdhsa_ieee_mode 1
		.amdhsa_fp16_overflow 0
		.amdhsa_tg_split 0
		.amdhsa_exception_fp_ieee_invalid_op 0
		.amdhsa_exception_fp_denorm_src 0
		.amdhsa_exception_fp_ieee_div_zero 0
		.amdhsa_exception_fp_ieee_overflow 0
		.amdhsa_exception_fp_ieee_underflow 0
		.amdhsa_exception_fp_ieee_inexact 0
		.amdhsa_exception_int_div_zero 0
	.end_amdhsa_kernel
	.section	.text._Z17flag_tails_kernelIibN6hipcub10InequalityELj128ELj1EEvPT_Px,"axG",@progbits,_Z17flag_tails_kernelIibN6hipcub10InequalityELj128ELj1EEvPT_Px,comdat
.Lfunc_end46:
	.size	_Z17flag_tails_kernelIibN6hipcub10InequalityELj128ELj1EEvPT_Px, .Lfunc_end46-_Z17flag_tails_kernelIibN6hipcub10InequalityELj128ELj1EEvPT_Px
                                        ; -- End function
	.section	.AMDGPU.csdata,"",@progbits
; Kernel info:
; codeLenInByte = 252
; NumSgprs: 14
; NumVgprs: 4
; NumAgprs: 0
; TotalNumVgprs: 4
; ScratchSize: 0
; MemoryBound: 0
; FloatMode: 240
; IeeeMode: 1
; LDSByteSize: 1024 bytes/workgroup (compile time only)
; SGPRBlocks: 1
; VGPRBlocks: 0
; NumSGPRsForWavesPerEU: 14
; NumVGPRsForWavesPerEU: 4
; AccumOffset: 4
; Occupancy: 8
; WaveLimiterHint : 0
; COMPUTE_PGM_RSRC2:SCRATCH_EN: 0
; COMPUTE_PGM_RSRC2:USER_SGPR: 6
; COMPUTE_PGM_RSRC2:TRAP_HANDLER: 0
; COMPUTE_PGM_RSRC2:TGID_X_EN: 1
; COMPUTE_PGM_RSRC2:TGID_Y_EN: 0
; COMPUTE_PGM_RSRC2:TGID_Z_EN: 0
; COMPUTE_PGM_RSRC2:TIDIG_COMP_CNT: 0
; COMPUTE_PGM_RSRC3_GFX90A:ACCUM_OFFSET: 0
; COMPUTE_PGM_RSRC3_GFX90A:TG_SPLIT: 0
	.section	.text._Z17flag_tails_kernelIjiN6hipcub8EqualityELj64ELj1EEvPT_Px,"axG",@progbits,_Z17flag_tails_kernelIjiN6hipcub8EqualityELj64ELj1EEvPT_Px,comdat
	.protected	_Z17flag_tails_kernelIjiN6hipcub8EqualityELj64ELj1EEvPT_Px ; -- Begin function _Z17flag_tails_kernelIjiN6hipcub8EqualityELj64ELj1EEvPT_Px
	.globl	_Z17flag_tails_kernelIjiN6hipcub8EqualityELj64ELj1EEvPT_Px
	.p2align	8
	.type	_Z17flag_tails_kernelIjiN6hipcub8EqualityELj64ELj1EEvPT_Px,@function
_Z17flag_tails_kernelIjiN6hipcub8EqualityELj64ELj1EEvPT_Px: ; @_Z17flag_tails_kernelIjiN6hipcub8EqualityELj64ELj1EEvPT_Px
; %bb.0:
	s_load_dwordx4 s[0:3], s[4:5], 0x0
	s_lshl_b32 s4, s6, 6
	s_mov_b32 s5, 0
	s_lshl_b64 s[8:9], s[4:5], 2
	v_lshlrev_b32_e32 v2, 2, v0
	s_waitcnt lgkmcnt(0)
	s_add_u32 s8, s0, s8
	s_addc_u32 s9, s1, s9
	global_load_dword v1, v2, s[8:9]
	s_bitcmp1_b32 s6, 0
	s_cselect_b64 s[0:1], -1, 0
	s_and_b64 vcc, exec, s[0:1]
	v_cmp_ne_u32_e64 s[0:1], 63, v0
	s_cbranch_vccz .LBB47_4
; %bb.1:
	s_mov_b64 s[6:7], -1
	s_waitcnt vmcnt(0)
	ds_write_b32 v2, v1 offset:256
	s_waitcnt lgkmcnt(0)
	; wave barrier
	s_waitcnt lgkmcnt(0)
	s_and_saveexec_b64 s[10:11], s[0:1]
	s_cbranch_execz .LBB47_3
; %bb.2:
	ds_read_b32 v3, v2 offset:260
	s_waitcnt lgkmcnt(0)
	v_cmp_eq_u32_e32 vcc, v3, v1
	s_orn2_b64 s[6:7], vcc, exec
.LBB47_3:
	s_or_b64 exec, exec, s[10:11]
	s_cbranch_execz .LBB47_5
	s_branch .LBB47_8
.LBB47_4:
                                        ; implicit-def: $sgpr6_sgpr7
.LBB47_5:
	s_load_dword s0, s[8:9], 0x100
	v_cmp_ne_u32_e32 vcc, 63, v0
	s_waitcnt vmcnt(0)
	ds_write_b32 v2, v1 offset:256
	s_waitcnt lgkmcnt(0)
	; wave barrier
	s_waitcnt lgkmcnt(0)
	v_mov_b32_e32 v3, s0
	s_and_saveexec_b64 s[0:1], vcc
	s_cbranch_execz .LBB47_7
; %bb.6:
	ds_read_b32 v3, v2 offset:260
.LBB47_7:
	s_or_b64 exec, exec, s[0:1]
	s_waitcnt lgkmcnt(0)
	v_cmp_eq_u32_e64 s[6:7], v3, v1
.LBB47_8:
	s_lshl_b64 s[0:1], s[4:5], 3
	s_add_u32 s0, s2, s0
	s_mov_b32 s2, 0
	s_addc_u32 s1, s3, s1
	v_lshlrev_b32_e32 v2, 3, v0
	v_cndmask_b32_e64 v0, 0, 1, s[6:7]
	s_waitcnt vmcnt(0)
	v_mov_b32_e32 v1, s2
	global_store_dwordx2 v2, v[0:1], s[0:1]
	s_endpgm
	.section	.rodata,"a",@progbits
	.p2align	6, 0x0
	.amdhsa_kernel _Z17flag_tails_kernelIjiN6hipcub8EqualityELj64ELj1EEvPT_Px
		.amdhsa_group_segment_fixed_size 512
		.amdhsa_private_segment_fixed_size 0
		.amdhsa_kernarg_size 16
		.amdhsa_user_sgpr_count 6
		.amdhsa_user_sgpr_private_segment_buffer 1
		.amdhsa_user_sgpr_dispatch_ptr 0
		.amdhsa_user_sgpr_queue_ptr 0
		.amdhsa_user_sgpr_kernarg_segment_ptr 1
		.amdhsa_user_sgpr_dispatch_id 0
		.amdhsa_user_sgpr_flat_scratch_init 0
		.amdhsa_user_sgpr_kernarg_preload_length 0
		.amdhsa_user_sgpr_kernarg_preload_offset 0
		.amdhsa_user_sgpr_private_segment_size 0
		.amdhsa_uses_dynamic_stack 0
		.amdhsa_system_sgpr_private_segment_wavefront_offset 0
		.amdhsa_system_sgpr_workgroup_id_x 1
		.amdhsa_system_sgpr_workgroup_id_y 0
		.amdhsa_system_sgpr_workgroup_id_z 0
		.amdhsa_system_sgpr_workgroup_info 0
		.amdhsa_system_vgpr_workitem_id 0
		.amdhsa_next_free_vgpr 4
		.amdhsa_next_free_sgpr 12
		.amdhsa_accum_offset 4
		.amdhsa_reserve_vcc 1
		.amdhsa_reserve_flat_scratch 0
		.amdhsa_float_round_mode_32 0
		.amdhsa_float_round_mode_16_64 0
		.amdhsa_float_denorm_mode_32 3
		.amdhsa_float_denorm_mode_16_64 3
		.amdhsa_dx10_clamp 1
		.amdhsa_ieee_mode 1
		.amdhsa_fp16_overflow 0
		.amdhsa_tg_split 0
		.amdhsa_exception_fp_ieee_invalid_op 0
		.amdhsa_exception_fp_denorm_src 0
		.amdhsa_exception_fp_ieee_div_zero 0
		.amdhsa_exception_fp_ieee_overflow 0
		.amdhsa_exception_fp_ieee_underflow 0
		.amdhsa_exception_fp_ieee_inexact 0
		.amdhsa_exception_int_div_zero 0
	.end_amdhsa_kernel
	.section	.text._Z17flag_tails_kernelIjiN6hipcub8EqualityELj64ELj1EEvPT_Px,"axG",@progbits,_Z17flag_tails_kernelIjiN6hipcub8EqualityELj64ELj1EEvPT_Px,comdat
.Lfunc_end47:
	.size	_Z17flag_tails_kernelIjiN6hipcub8EqualityELj64ELj1EEvPT_Px, .Lfunc_end47-_Z17flag_tails_kernelIjiN6hipcub8EqualityELj64ELj1EEvPT_Px
                                        ; -- End function
	.section	.AMDGPU.csdata,"",@progbits
; Kernel info:
; codeLenInByte = 248
; NumSgprs: 16
; NumVgprs: 4
; NumAgprs: 0
; TotalNumVgprs: 4
; ScratchSize: 0
; MemoryBound: 0
; FloatMode: 240
; IeeeMode: 1
; LDSByteSize: 512 bytes/workgroup (compile time only)
; SGPRBlocks: 1
; VGPRBlocks: 0
; NumSGPRsForWavesPerEU: 16
; NumVGPRsForWavesPerEU: 4
; AccumOffset: 4
; Occupancy: 8
; WaveLimiterHint : 0
; COMPUTE_PGM_RSRC2:SCRATCH_EN: 0
; COMPUTE_PGM_RSRC2:USER_SGPR: 6
; COMPUTE_PGM_RSRC2:TRAP_HANDLER: 0
; COMPUTE_PGM_RSRC2:TGID_X_EN: 1
; COMPUTE_PGM_RSRC2:TGID_Y_EN: 0
; COMPUTE_PGM_RSRC2:TGID_Z_EN: 0
; COMPUTE_PGM_RSRC2:TIDIG_COMP_CNT: 0
; COMPUTE_PGM_RSRC3_GFX90A:ACCUM_OFFSET: 0
; COMPUTE_PGM_RSRC3_GFX90A:TG_SPLIT: 0
	.section	.text._Z27flag_heads_and_tails_kernelIsb15custom_flag_op1IsELj234ELj9EEvPT_PxS4_,"axG",@progbits,_Z27flag_heads_and_tails_kernelIsb15custom_flag_op1IsELj234ELj9EEvPT_PxS4_,comdat
	.protected	_Z27flag_heads_and_tails_kernelIsb15custom_flag_op1IsELj234ELj9EEvPT_PxS4_ ; -- Begin function _Z27flag_heads_and_tails_kernelIsb15custom_flag_op1IsELj234ELj9EEvPT_PxS4_
	.globl	_Z27flag_heads_and_tails_kernelIsb15custom_flag_op1IsELj234ELj9EEvPT_PxS4_
	.p2align	8
	.type	_Z27flag_heads_and_tails_kernelIsb15custom_flag_op1IsELj234ELj9EEvPT_PxS4_,@function
_Z27flag_heads_and_tails_kernelIsb15custom_flag_op1IsELj234ELj9EEvPT_PxS4_: ; @_Z27flag_heads_and_tails_kernelIsb15custom_flag_op1IsELj234ELj9EEvPT_PxS4_
; %bb.0:
	s_load_dwordx4 s[0:3], s[4:5], 0x0
	s_load_dwordx2 s[8:9], s[4:5], 0x10
	s_mul_i32 s4, s6, 0x83a
	s_mov_b32 s5, 0
	s_lshl_b64 s[10:11], s[4:5], 1
	s_waitcnt lgkmcnt(0)
	s_add_u32 s10, s0, s10
	v_mul_u32_u24_e32 v1, 9, v0
	s_addc_u32 s11, s1, s11
	v_lshlrev_b32_e32 v7, 1, v1
	global_load_dwordx4 v[2:5], v7, s[10:11]
	global_load_ushort v6, v7, s[10:11] offset:16
	s_and_b32 s33, s6, 3
	s_cmp_lt_i32 s33, 2
	s_cbranch_scc1 .LBB48_44
; %bb.1:
	s_cmp_gt_i32 s33, 2
	s_cbranch_scc0 .LBB48_45
; %bb.2:
	v_lshlrev_b32_e32 v7, 1, v0
	s_waitcnt vmcnt(0)
	v_cmp_ne_u16_sdwa s[6:7], v6, v5 src0_sel:DWORD src1_sel:WORD_1
	s_mov_b64 s[22:23], -1
	s_mov_b64 s[16:17], -1
	ds_write_b16 v7, v6
	s_and_saveexec_b64 s[10:11], s[6:7]
; %bb.3:
	s_movk_i32 s12, 0xcccd
	v_mov_b32_e32 v8, 0x6668
	v_mad_legacy_u16 v8, v1, s12, v8
	v_lshlrev_b16_e32 v9, 15, v8
	v_lshrrev_b16_e32 v8, 1, v8
	v_or_b32_e32 v8, v8, v9
	s_movk_i32 s12, 0x199a
	v_cmp_gt_u16_e32 vcc, s12, v8
	s_orn2_b64 s[16:17], vcc, exec
; %bb.4:
	s_or_b64 exec, exec, s[10:11]
	v_cmp_ne_u16_sdwa s[10:11], v5, v5 src0_sel:WORD_1 src1_sel:DWORD
	s_and_saveexec_b64 s[12:13], s[10:11]
; %bb.5:
	s_movk_i32 s14, 0xcccd
	v_mov_b32_e32 v8, 0xffff999b
	v_mad_legacy_u16 v8, v1, s14, v8
	v_lshlrev_b16_e32 v9, 15, v8
	v_lshrrev_b16_e32 v8, 1, v8
	v_or_b32_e32 v8, v8, v9
	s_movk_i32 s14, 0x199a
	v_cmp_gt_u16_e32 vcc, s14, v8
	s_orn2_b64 s[22:23], vcc, exec
; %bb.6:
	s_or_b64 exec, exec, s[12:13]
	v_cmp_ne_u16_sdwa s[12:13], v5, v4 src0_sel:DWORD src1_sel:WORD_1
	s_mov_b64 s[26:27], -1
	s_mov_b64 s[28:29], -1
	s_and_saveexec_b64 s[14:15], s[12:13]
; %bb.7:
	s_movk_i32 s18, 0xcccd
	v_mov_b32_e32 v8, 0xffffccce
	v_mad_legacy_u16 v8, v1, s18, v8
	v_lshlrev_b16_e32 v9, 15, v8
	v_lshrrev_b16_e32 v8, 1, v8
	v_or_b32_e32 v8, v8, v9
	s_movk_i32 s18, 0x199a
	v_cmp_gt_u16_e32 vcc, s18, v8
	s_orn2_b64 s[28:29], vcc, exec
; %bb.8:
	s_or_b64 exec, exec, s[14:15]
	v_cmp_ne_u16_sdwa s[14:15], v4, v4 src0_sel:WORD_1 src1_sel:DWORD
	s_and_saveexec_b64 s[18:19], s[14:15]
; %bb.9:
	s_movk_i32 s20, 0xcccd
	v_mad_legacy_u16 v8, v1, s20, 1
	v_lshlrev_b16_e32 v9, 15, v8
	v_lshrrev_b16_e32 v8, 1, v8
	v_or_b32_e32 v8, v8, v9
	s_movk_i32 s20, 0x199a
	v_cmp_gt_u16_e32 vcc, s20, v8
	s_orn2_b64 s[26:27], vcc, exec
; %bb.10:
	s_or_b64 exec, exec, s[18:19]
	v_cmp_ne_u16_sdwa s[18:19], v4, v3 src0_sel:DWORD src1_sel:WORD_1
	s_mov_b64 s[36:37], -1
	s_mov_b64 s[34:35], -1
	s_and_saveexec_b64 s[20:21], s[18:19]
; %bb.11:
	s_movk_i32 s24, 0xcccd
	v_mov_b32_e32 v8, 0x3334
	v_mad_legacy_u16 v8, v1, s24, v8
	v_lshlrev_b16_e32 v9, 15, v8
	v_lshrrev_b16_e32 v8, 1, v8
	v_or_b32_e32 v8, v8, v9
	s_movk_i32 s24, 0x199a
	v_cmp_gt_u16_e32 vcc, s24, v8
	s_orn2_b64 s[34:35], vcc, exec
; %bb.12:
	s_or_b64 exec, exec, s[20:21]
	v_cmp_ne_u16_sdwa s[20:21], v3, v3 src0_sel:WORD_1 src1_sel:DWORD
	s_and_saveexec_b64 s[24:25], s[20:21]
; %bb.13:
	s_movk_i32 s30, 0xcccd
	v_mov_b32_e32 v8, 0x6667
	v_mad_legacy_u16 v8, v1, s30, v8
	v_lshlrev_b16_e32 v9, 15, v8
	v_lshrrev_b16_e32 v8, 1, v8
	v_or_b32_e32 v8, v8, v9
	s_movk_i32 s30, 0x199a
	v_cmp_gt_u16_e32 vcc, s30, v8
	s_orn2_b64 s[36:37], vcc, exec
; %bb.14:
	s_or_b64 exec, exec, s[24:25]
	v_cmp_ne_u16_sdwa s[24:25], v3, v2 src0_sel:DWORD src1_sel:WORD_1
	s_mov_b64 s[38:39], -1
	s_mov_b64 s[40:41], -1
	s_and_saveexec_b64 s[30:31], s[24:25]
; %bb.15:
	s_movk_i32 s40, 0xcccd
	v_mov_b32_e32 v8, 0xffff999a
	v_mad_legacy_u16 v8, v1, s40, v8
	v_lshlrev_b16_e32 v9, 15, v8
	v_lshrrev_b16_e32 v8, 1, v8
	v_or_b32_e32 v8, v8, v9
	s_movk_i32 s40, 0x199a
	v_cmp_gt_u16_e32 vcc, s40, v8
	s_orn2_b64 s[40:41], vcc, exec
; %bb.16:
	s_or_b64 exec, exec, s[30:31]
	v_cmp_ne_u16_sdwa s[30:31], v2, v2 src0_sel:WORD_1 src1_sel:DWORD
	s_and_saveexec_b64 s[42:43], s[30:31]
; %bb.17:
	s_movk_i32 s38, 0xcccd
	v_mad_legacy_u16 v8, v1, s38, s38
	v_lshlrev_b16_e32 v9, 15, v8
	v_lshrrev_b16_e32 v8, 1, v8
	v_or_b32_e32 v8, v8, v9
	s_movk_i32 s38, 0x199a
	v_cmp_gt_u16_e32 vcc, s38, v8
	s_orn2_b64 s[38:39], vcc, exec
; %bb.18:
	s_or_b64 exec, exec, s[42:43]
	v_cndmask_b32_e64 v9, 0, 1, s[36:37]
	v_cndmask_b32_e64 v14, 0, 1, s[38:39]
	;; [unrolled: 1-line block ×3, first 2 shown]
	v_lshlrev_b16_e32 v14, 8, v14
	v_lshlrev_b16_e32 v9, 8, v9
	v_cndmask_b32_e64 v11, 0, 1, s[26:27]
	v_or_b32_e32 v14, 1, v14
	v_or_b32_sdwa v8, v8, v9 dst_sel:WORD_1 dst_unused:UNUSED_PAD src0_sel:DWORD src1_sel:DWORD
	v_cndmask_b32_e64 v10, 0, 1, s[34:35]
	v_cndmask_b32_e64 v13, 0, 1, s[22:23]
	v_or_b32_sdwa v9, v14, v8 dst_sel:DWORD dst_unused:UNUSED_PAD src0_sel:WORD_0 src1_sel:DWORD
	v_lshlrev_b16_e32 v8, 8, v11
	v_cndmask_b32_e64 v12, 0, 1, s[28:29]
	v_or_b32_e32 v8, v10, v8
	v_lshlrev_b16_e32 v10, 8, v13
	v_or_b32_sdwa v10, v12, v10 dst_sel:WORD_1 dst_unused:UNUSED_PAD src0_sel:DWORD src1_sel:DWORD
	v_or_b32_sdwa v8, v8, v10 dst_sel:DWORD dst_unused:UNUSED_PAD src0_sel:WORD_0 src1_sel:DWORD
	v_cmp_ne_u32_e32 vcc, 0, v0
	s_waitcnt lgkmcnt(0)
	s_barrier
	s_and_saveexec_b64 s[22:23], vcc
	s_cbranch_execz .LBB48_22
; %bb.19:
	v_add_u32_e32 v10, -2, v7
	ds_read_u16 v10, v10
	s_mov_b64 s[28:29], -1
	s_waitcnt lgkmcnt(0)
	v_cmp_ne_u16_e32 vcc, v2, v10
	s_and_saveexec_b64 s[26:27], vcc
; %bb.20:
	v_mul_lo_u16_e32 v10, 0xcccd, v1
	v_lshlrev_b16_e32 v11, 15, v10
	v_lshrrev_b16_e32 v10, 1, v10
	v_or_b32_e32 v10, v10, v11
	s_movk_i32 s28, 0x199a
	v_cmp_gt_u16_e32 vcc, s28, v10
	s_orn2_b64 s[28:29], vcc, exec
; %bb.21:
	s_or_b64 exec, exec, s[26:27]
	v_lshrrev_b32_e32 v11, 24, v9
	s_movk_i32 s26, 0xff
	v_lshlrev_b16_e32 v11, 8, v11
	v_and_b32_sdwa v12, v9, s26 dst_sel:DWORD dst_unused:UNUSED_PAD src0_sel:WORD_1 src1_sel:DWORD
	v_or_b32_sdwa v11, v12, v11 dst_sel:WORD_1 dst_unused:UNUSED_PAD src0_sel:DWORD src1_sel:DWORD
	v_mov_b32_e32 v12, 8
	v_cndmask_b32_e64 v10, 0, 1, s[28:29]
	v_lshrrev_b32_sdwa v9, v12, v9 dst_sel:BYTE_1 dst_unused:UNUSED_PAD src0_sel:DWORD src1_sel:DWORD
	v_or_b32_e32 v9, v10, v9
	v_or_b32_sdwa v9, v9, v11 dst_sel:DWORD dst_unused:UNUSED_PAD src0_sel:WORD_0 src1_sel:DWORD
.LBB48_22:
	s_or_b64 exec, exec, s[22:23]
	v_cndmask_b32_e64 v10, 0, 1, s[16:17]
	s_mov_b64 s[22:23], -1
	s_mov_b64 s[16:17], -1
	ds_write_b16 v7, v2 offset:468
	s_and_saveexec_b64 s[26:27], s[30:31]
; %bb.23:
	s_movk_i32 s16, 0xcccd
	v_mad_legacy_u16 v11, v1, s16, s16
	v_lshlrev_b16_e32 v12, 15, v11
	v_lshrrev_b16_e32 v11, 1, v11
	v_or_b32_e32 v11, v11, v12
	s_movk_i32 s16, 0x199a
	v_cmp_gt_u16_e32 vcc, s16, v11
	s_orn2_b64 s[16:17], vcc, exec
; %bb.24:
	s_or_b64 exec, exec, s[26:27]
	s_and_saveexec_b64 s[26:27], s[24:25]
; %bb.25:
	s_movk_i32 s22, 0xcccd
	v_mov_b32_e32 v11, 0xffff999a
	v_mad_legacy_u16 v11, v1, s22, v11
	v_lshlrev_b16_e32 v12, 15, v11
	v_lshrrev_b16_e32 v11, 1, v11
	v_or_b32_e32 v11, v11, v12
	s_movk_i32 s22, 0x199a
	v_cmp_gt_u16_e32 vcc, s22, v11
	s_orn2_b64 s[22:23], vcc, exec
; %bb.26:
	s_or_b64 exec, exec, s[26:27]
	s_mov_b64 s[26:27], -1
	s_mov_b64 s[24:25], -1
	s_and_saveexec_b64 s[28:29], s[20:21]
; %bb.27:
	s_movk_i32 s20, 0xcccd
	v_mov_b32_e32 v11, 0x6667
	v_mad_legacy_u16 v11, v1, s20, v11
	v_lshlrev_b16_e32 v12, 15, v11
	v_lshrrev_b16_e32 v11, 1, v11
	v_or_b32_e32 v11, v11, v12
	s_movk_i32 s20, 0x199a
	v_cmp_gt_u16_e32 vcc, s20, v11
	s_orn2_b64 s[24:25], vcc, exec
; %bb.28:
	s_or_b64 exec, exec, s[28:29]
	s_and_saveexec_b64 s[20:21], s[18:19]
; %bb.29:
	s_movk_i32 s18, 0xcccd
	v_mov_b32_e32 v11, 0x3334
	v_mad_legacy_u16 v11, v1, s18, v11
	v_lshlrev_b16_e32 v12, 15, v11
	v_lshrrev_b16_e32 v11, 1, v11
	v_or_b32_e32 v11, v11, v12
	s_movk_i32 s18, 0x199a
	v_cmp_gt_u16_e32 vcc, s18, v11
	s_orn2_b64 s[26:27], vcc, exec
; %bb.30:
	s_or_b64 exec, exec, s[20:21]
	s_mov_b64 s[20:21], -1
	s_mov_b64 s[18:19], -1
	s_and_saveexec_b64 s[28:29], s[14:15]
; %bb.31:
	s_movk_i32 s14, 0xcccd
	v_mad_legacy_u16 v11, v1, s14, 1
	v_lshlrev_b16_e32 v12, 15, v11
	v_lshrrev_b16_e32 v11, 1, v11
	v_or_b32_e32 v11, v11, v12
	s_movk_i32 s14, 0x199a
	v_cmp_gt_u16_e32 vcc, s14, v11
	s_orn2_b64 s[18:19], vcc, exec
; %bb.32:
	s_or_b64 exec, exec, s[28:29]
	s_and_saveexec_b64 s[14:15], s[12:13]
; %bb.33:
	s_movk_i32 s12, 0xcccd
	v_mov_b32_e32 v11, 0xffffccce
	v_mad_legacy_u16 v11, v1, s12, v11
	v_lshlrev_b16_e32 v12, 15, v11
	v_lshrrev_b16_e32 v11, 1, v11
	v_or_b32_e32 v11, v11, v12
	s_movk_i32 s12, 0x199a
	v_cmp_gt_u16_e32 vcc, s12, v11
	s_orn2_b64 s[20:21], vcc, exec
; %bb.34:
	s_or_b64 exec, exec, s[14:15]
	s_mov_b64 s[12:13], -1
	s_mov_b64 s[14:15], -1
	s_and_saveexec_b64 s[28:29], s[10:11]
; %bb.35:
	s_movk_i32 s10, 0xcccd
	v_mov_b32_e32 v11, 0xffff999b
	v_mad_legacy_u16 v11, v1, s10, v11
	v_lshlrev_b16_e32 v12, 15, v11
	v_lshrrev_b16_e32 v11, 1, v11
	v_or_b32_e32 v11, v11, v12
	s_movk_i32 s10, 0x199a
	v_cmp_gt_u16_e32 vcc, s10, v11
	s_orn2_b64 s[14:15], vcc, exec
; %bb.36:
	s_or_b64 exec, exec, s[28:29]
	s_and_saveexec_b64 s[10:11], s[6:7]
; %bb.37:
	s_movk_i32 s6, 0xcccd
	v_mov_b32_e32 v11, 0x6668
	v_mad_legacy_u16 v11, v1, s6, v11
	v_lshlrev_b16_e32 v12, 15, v11
	v_lshrrev_b16_e32 v11, 1, v11
	v_or_b32_e32 v11, v11, v12
	s_movk_i32 s6, 0x199a
	v_cmp_gt_u16_e32 vcc, s6, v11
	s_orn2_b64 s[12:13], vcc, exec
; %bb.38:
	s_or_b64 exec, exec, s[10:11]
	v_cndmask_b32_e64 v13, 0, 1, s[20:21]
	v_cndmask_b32_e64 v14, 0, 1, s[18:19]
	;; [unrolled: 1-line block ×5, first 2 shown]
	v_lshlrev_b16_e32 v13, 8, v13
	v_cndmask_b32_e64 v12, 0, 1, s[14:15]
	v_cndmask_b32_e64 v15, 0, 1, s[24:25]
	;; [unrolled: 1-line block ×3, first 2 shown]
	v_lshlrev_b16_e32 v16, 8, v16
	v_lshlrev_b16_e32 v11, 8, v11
	v_or_b32_e32 v13, v14, v13
	v_lshlrev_b16_e32 v14, 8, v18
	v_or_b32_e32 v16, v17, v16
	v_or_b32_sdwa v11, v15, v11 dst_sel:WORD_1 dst_unused:UNUSED_PAD src0_sel:DWORD src1_sel:DWORD
	v_or_b32_sdwa v12, v12, v14 dst_sel:WORD_1 dst_unused:UNUSED_PAD src0_sel:DWORD src1_sel:DWORD
	s_movk_i32 s6, 0xe9
	v_or_b32_sdwa v11, v16, v11 dst_sel:DWORD dst_unused:UNUSED_PAD src0_sel:WORD_0 src1_sel:DWORD
	v_or_b32_sdwa v12, v13, v12 dst_sel:DWORD dst_unused:UNUSED_PAD src0_sel:WORD_0 src1_sel:DWORD
	v_mov_b32_e32 v13, 1
	v_cmp_ne_u32_e32 vcc, s6, v0
	s_waitcnt lgkmcnt(0)
	s_barrier
	s_and_saveexec_b64 s[6:7], vcc
	s_cbranch_execz .LBB48_42
; %bb.39:
	ds_read_u16 v7, v7 offset:470
	s_mov_b64 s[12:13], -1
	s_waitcnt lgkmcnt(0)
	v_cmp_ne_u16_e32 vcc, v7, v6
	s_and_saveexec_b64 s[10:11], vcc
; %bb.40:
	s_movk_i32 s12, 0xcccd
	v_mov_b32_e32 v7, 0x3335
	v_mad_legacy_u16 v7, v1, s12, v7
	v_lshlrev_b16_e32 v13, 15, v7
	v_lshrrev_b16_e32 v7, 1, v7
	v_or_b32_e32 v7, v7, v13
	s_movk_i32 s12, 0x199a
	v_cmp_gt_u16_e32 vcc, s12, v7
	s_orn2_b64 s[12:13], vcc, exec
; %bb.41:
	s_or_b64 exec, exec, s[10:11]
	v_cndmask_b32_e64 v13, 0, 1, s[12:13]
.LBB48_42:
	s_or_b64 exec, exec, s[6:7]
.LBB48_43:
	s_cbranch_execz .LBB48_85
	s_branch .LBB48_167
.LBB48_44:
                                        ; implicit-def: $vgpr10
                                        ; implicit-def: $vgpr8
                                        ; implicit-def: $vgpr9
                                        ; implicit-def: $vgpr13
                                        ; implicit-def: $vgpr12
                                        ; implicit-def: $vgpr11
	s_branch .LBB48_85
.LBB48_45:
                                        ; implicit-def: $vgpr10
                                        ; implicit-def: $vgpr8
                                        ; implicit-def: $vgpr9
                                        ; implicit-def: $vgpr13
                                        ; implicit-def: $vgpr12
                                        ; implicit-def: $vgpr11
	s_cbranch_execz .LBB48_43
; %bb.46:
	s_add_i32 s6, s4, -1
	s_mov_b32 s7, 0
	s_lshl_b64 s[6:7], s[6:7], 1
	s_add_u32 s6, s0, s6
	s_addc_u32 s7, s1, s7
	v_mov_b32_e32 v7, 0
	global_load_ushort v8, v7, s[6:7]
	v_lshlrev_b32_e32 v7, 1, v0
	s_waitcnt vmcnt(1)
	v_cmp_ne_u16_sdwa s[12:13], v6, v5 src0_sel:DWORD src1_sel:WORD_1
	s_mov_b64 s[10:11], -1
	s_mov_b64 s[6:7], -1
	ds_write_b16 v7, v6
	s_and_saveexec_b64 s[14:15], s[12:13]
; %bb.47:
	s_movk_i32 s6, 0xcccd
	v_mov_b32_e32 v9, 0x6668
	v_mad_legacy_u16 v9, v1, s6, v9
	v_lshlrev_b16_e32 v10, 15, v9
	v_lshrrev_b16_e32 v9, 1, v9
	v_or_b32_e32 v9, v9, v10
	s_movk_i32 s6, 0x199a
	v_cmp_gt_u16_e32 vcc, s6, v9
	s_orn2_b64 s[6:7], vcc, exec
; %bb.48:
	s_or_b64 exec, exec, s[14:15]
	v_cmp_ne_u16_sdwa s[18:19], v5, v5 src0_sel:WORD_1 src1_sel:DWORD
	s_and_saveexec_b64 s[14:15], s[18:19]
; %bb.49:
	s_movk_i32 s10, 0xcccd
	v_mov_b32_e32 v9, 0xffff999b
	v_mad_legacy_u16 v9, v1, s10, v9
	v_lshlrev_b16_e32 v10, 15, v9
	v_lshrrev_b16_e32 v9, 1, v9
	v_or_b32_e32 v9, v9, v10
	s_movk_i32 s10, 0x199a
	v_cmp_gt_u16_e32 vcc, s10, v9
	s_orn2_b64 s[10:11], vcc, exec
; %bb.50:
	s_or_b64 exec, exec, s[14:15]
	v_cmp_ne_u16_sdwa s[24:25], v5, v4 src0_sel:DWORD src1_sel:WORD_1
	s_mov_b64 s[14:15], -1
	s_mov_b64 s[16:17], -1
	s_and_saveexec_b64 s[20:21], s[24:25]
; %bb.51:
	s_movk_i32 s16, 0xcccd
	v_mov_b32_e32 v9, 0xffffccce
	v_mad_legacy_u16 v9, v1, s16, v9
	v_lshlrev_b16_e32 v10, 15, v9
	v_lshrrev_b16_e32 v9, 1, v9
	v_or_b32_e32 v9, v9, v10
	s_movk_i32 s16, 0x199a
	v_cmp_gt_u16_e32 vcc, s16, v9
	s_orn2_b64 s[16:17], vcc, exec
; %bb.52:
	s_or_b64 exec, exec, s[20:21]
	v_cmp_ne_u16_sdwa s[30:31], v4, v4 src0_sel:WORD_1 src1_sel:DWORD
	s_and_saveexec_b64 s[20:21], s[30:31]
; %bb.53:
	s_movk_i32 s14, 0xcccd
	v_mad_legacy_u16 v9, v1, s14, 1
	v_lshlrev_b16_e32 v10, 15, v9
	v_lshrrev_b16_e32 v9, 1, v9
	v_or_b32_e32 v9, v9, v10
	s_movk_i32 s14, 0x199a
	v_cmp_gt_u16_e32 vcc, s14, v9
	s_orn2_b64 s[14:15], vcc, exec
; %bb.54:
	s_or_b64 exec, exec, s[20:21]
	v_cmp_ne_u16_sdwa s[36:37], v4, v3 src0_sel:DWORD src1_sel:WORD_1
	s_mov_b64 s[22:23], -1
	s_mov_b64 s[20:21], -1
	s_and_saveexec_b64 s[26:27], s[36:37]
; %bb.55:
	s_movk_i32 s20, 0xcccd
	v_mov_b32_e32 v9, 0x3334
	v_mad_legacy_u16 v9, v1, s20, v9
	v_lshlrev_b16_e32 v10, 15, v9
	v_lshrrev_b16_e32 v9, 1, v9
	v_or_b32_e32 v9, v9, v10
	s_movk_i32 s20, 0x199a
	v_cmp_gt_u16_e32 vcc, s20, v9
	s_orn2_b64 s[20:21], vcc, exec
; %bb.56:
	s_or_b64 exec, exec, s[26:27]
	v_cmp_ne_u16_sdwa s[40:41], v3, v3 src0_sel:WORD_1 src1_sel:DWORD
	s_and_saveexec_b64 s[26:27], s[40:41]
; %bb.57:
	s_movk_i32 s22, 0xcccd
	v_mov_b32_e32 v9, 0x6667
	v_mad_legacy_u16 v9, v1, s22, v9
	v_lshlrev_b16_e32 v10, 15, v9
	v_lshrrev_b16_e32 v9, 1, v9
	v_or_b32_e32 v9, v9, v10
	s_movk_i32 s22, 0x199a
	v_cmp_gt_u16_e32 vcc, s22, v9
	s_orn2_b64 s[22:23], vcc, exec
; %bb.58:
	s_or_b64 exec, exec, s[26:27]
	v_cmp_ne_u16_sdwa s[46:47], v3, v2 src0_sel:DWORD src1_sel:WORD_1
	s_mov_b64 s[26:27], -1
	s_mov_b64 s[28:29], -1
	s_and_saveexec_b64 s[34:35], s[46:47]
; %bb.59:
	s_movk_i32 s28, 0xcccd
	v_mov_b32_e32 v9, 0xffff999a
	v_mad_legacy_u16 v9, v1, s28, v9
	v_lshlrev_b16_e32 v10, 15, v9
	v_lshrrev_b16_e32 v9, 1, v9
	v_or_b32_e32 v9, v9, v10
	s_movk_i32 s28, 0x199a
	v_cmp_gt_u16_e32 vcc, s28, v9
	s_orn2_b64 s[28:29], vcc, exec
; %bb.60:
	s_or_b64 exec, exec, s[34:35]
	v_cmp_ne_u16_sdwa s[42:43], v2, v2 src0_sel:WORD_1 src1_sel:DWORD
	s_and_saveexec_b64 s[34:35], s[42:43]
; %bb.61:
	s_movk_i32 s26, 0xcccd
	v_mad_legacy_u16 v9, v1, s26, s26
	v_lshlrev_b16_e32 v10, 15, v9
	v_lshrrev_b16_e32 v9, 1, v9
	v_or_b32_e32 v9, v9, v10
	s_movk_i32 s26, 0x199a
	v_cmp_gt_u16_e32 vcc, s26, v9
	s_orn2_b64 s[26:27], vcc, exec
; %bb.62:
	s_or_b64 exec, exec, s[34:35]
	v_cmp_ne_u32_e32 vcc, 0, v0
	s_waitcnt lgkmcnt(0)
	s_barrier
	s_and_saveexec_b64 s[34:35], vcc
	s_cbranch_execz .LBB48_64
; %bb.63:
	s_waitcnt vmcnt(0)
	v_add_u32_e32 v8, -2, v7
	ds_read_u16 v8, v8
.LBB48_64:
	s_or_b64 exec, exec, s[34:35]
	s_waitcnt vmcnt(0) lgkmcnt(0)
	v_cmp_ne_u16_e32 vcc, v2, v8
	s_mov_b64 s[38:39], -1
	s_mov_b64 s[34:35], -1
	s_and_saveexec_b64 s[44:45], vcc
; %bb.65:
	v_mul_lo_u16_e32 v8, 0xcccd, v1
	v_lshlrev_b16_e32 v9, 15, v8
	v_lshrrev_b16_e32 v8, 1, v8
	v_or_b32_e32 v8, v8, v9
	s_movk_i32 s34, 0x199a
	v_cmp_gt_u16_e32 vcc, s34, v8
	s_orn2_b64 s[34:35], vcc, exec
; %bb.66:
	s_or_b64 exec, exec, s[44:45]
	ds_write_b16 v7, v2 offset:468
	s_and_saveexec_b64 s[44:45], s[42:43]
; %bb.67:
	s_movk_i32 s38, 0xcccd
	v_mad_legacy_u16 v8, v1, s38, s38
	v_lshlrev_b16_e32 v9, 15, v8
	v_lshrrev_b16_e32 v8, 1, v8
	v_or_b32_e32 v8, v8, v9
	s_movk_i32 s38, 0x199a
	v_cmp_gt_u16_e32 vcc, s38, v8
	s_orn2_b64 s[38:39], vcc, exec
; %bb.68:
	s_or_b64 exec, exec, s[44:45]
	s_mov_b64 s[44:45], -1
	s_mov_b64 s[42:43], -1
	s_and_saveexec_b64 s[48:49], s[46:47]
; %bb.69:
	s_movk_i32 s42, 0xcccd
	v_mov_b32_e32 v8, 0xffff999a
	v_mad_legacy_u16 v8, v1, s42, v8
	v_lshlrev_b16_e32 v9, 15, v8
	v_lshrrev_b16_e32 v8, 1, v8
	v_or_b32_e32 v8, v8, v9
	s_movk_i32 s42, 0x199a
	v_cmp_gt_u16_e32 vcc, s42, v8
	s_orn2_b64 s[42:43], vcc, exec
; %bb.70:
	s_or_b64 exec, exec, s[48:49]
	s_and_saveexec_b64 s[46:47], s[40:41]
; %bb.71:
	s_movk_i32 s40, 0xcccd
	v_mov_b32_e32 v8, 0x6667
	v_mad_legacy_u16 v8, v1, s40, v8
	v_lshlrev_b16_e32 v9, 15, v8
	v_lshrrev_b16_e32 v8, 1, v8
	v_or_b32_e32 v8, v8, v9
	s_movk_i32 s40, 0x199a
	v_cmp_gt_u16_e32 vcc, s40, v8
	s_orn2_b64 s[44:45], vcc, exec
; %bb.72:
	s_or_b64 exec, exec, s[46:47]
	s_mov_b64 s[40:41], -1
	s_mov_b64 s[46:47], -1
	s_and_saveexec_b64 s[48:49], s[36:37]
; %bb.73:
	s_movk_i32 s36, 0xcccd
	v_mov_b32_e32 v8, 0x3334
	v_mad_legacy_u16 v8, v1, s36, v8
	v_lshlrev_b16_e32 v9, 15, v8
	v_lshrrev_b16_e32 v8, 1, v8
	v_or_b32_e32 v8, v8, v9
	s_movk_i32 s36, 0x199a
	v_cmp_gt_u16_e32 vcc, s36, v8
	s_orn2_b64 s[46:47], vcc, exec
; %bb.74:
	s_or_b64 exec, exec, s[48:49]
	s_and_saveexec_b64 s[36:37], s[30:31]
; %bb.75:
	s_movk_i32 s30, 0xcccd
	v_mad_legacy_u16 v8, v1, s30, 1
	v_lshlrev_b16_e32 v9, 15, v8
	v_lshrrev_b16_e32 v8, 1, v8
	v_or_b32_e32 v8, v8, v9
	s_movk_i32 s30, 0x199a
	v_cmp_gt_u16_e32 vcc, s30, v8
	s_orn2_b64 s[40:41], vcc, exec
; %bb.76:
	s_or_b64 exec, exec, s[36:37]
	s_mov_b64 s[36:37], -1
	s_mov_b64 s[30:31], -1
	s_and_saveexec_b64 s[48:49], s[24:25]
	s_cbranch_execnz .LBB48_168
; %bb.77:
	s_or_b64 exec, exec, s[48:49]
	s_and_saveexec_b64 s[24:25], s[18:19]
	s_cbranch_execnz .LBB48_169
.LBB48_78:
	s_or_b64 exec, exec, s[24:25]
	s_mov_b64 s[18:19], -1
	s_and_saveexec_b64 s[24:25], s[12:13]
.LBB48_79:
	s_movk_i32 s12, 0xcccd
	v_mov_b32_e32 v8, 0x6668
	v_mad_legacy_u16 v8, v1, s12, v8
	v_lshlrev_b16_e32 v9, 15, v8
	v_lshrrev_b16_e32 v8, 1, v8
	v_or_b32_e32 v8, v8, v9
	s_movk_i32 s12, 0x199a
	v_cmp_gt_u16_e32 vcc, s12, v8
	s_orn2_b64 s[18:19], vcc, exec
.LBB48_80:
	s_or_b64 exec, exec, s[24:25]
	v_cndmask_b32_e64 v9, 0, 1, s[30:31]
	v_cndmask_b32_e64 v10, 0, 1, s[40:41]
	v_cndmask_b32_e64 v23, 0, 1, s[18:19]
	v_lshlrev_b16_e32 v9, 8, v9
	v_cndmask_b32_e64 v8, 0, 1, s[36:37]
	v_cndmask_b32_e64 v11, 0, 1, s[46:47]
	;; [unrolled: 1-line block ×4, first 2 shown]
	v_or_b32_e32 v9, v10, v9
	v_lshlrev_b16_e32 v10, 8, v23
	v_cndmask_b32_e64 v12, 0, 1, s[44:45]
	v_cndmask_b32_e64 v14, 0, 1, s[38:39]
	;; [unrolled: 1-line block ×6, first 2 shown]
	v_lshlrev_b16_e32 v13, 8, v13
	v_lshlrev_b16_e32 v11, 8, v11
	v_or_b32_sdwa v8, v8, v10 dst_sel:WORD_1 dst_unused:UNUSED_PAD src0_sel:DWORD src1_sel:DWORD
	v_lshlrev_b16_e32 v10, 8, v19
	v_cndmask_b32_e64 v16, 0, 1, s[28:29]
	v_cndmask_b32_e64 v20, 0, 1, s[16:17]
	;; [unrolled: 1-line block ×3, first 2 shown]
	v_or_b32_e32 v13, v14, v13
	v_or_b32_sdwa v11, v12, v11 dst_sel:WORD_1 dst_unused:UNUSED_PAD src0_sel:DWORD src1_sel:DWORD
	v_or_b32_sdwa v12, v9, v8 dst_sel:DWORD dst_unused:UNUSED_PAD src0_sel:WORD_0 src1_sel:DWORD
	s_movk_i32 s10, 0xe9
	v_lshlrev_b16_e32 v8, 8, v15
	v_lshlrev_b16_e32 v9, 8, v17
	v_or_b32_e32 v14, v18, v10
	v_lshlrev_b16_e32 v10, 8, v21
	v_or_b32_sdwa v11, v13, v11 dst_sel:DWORD dst_unused:UNUSED_PAD src0_sel:WORD_0 src1_sel:DWORD
	v_mov_b32_e32 v13, 1
	v_cmp_ne_u32_e32 vcc, s10, v0
	v_or_b32_e32 v8, v22, v8
	v_or_b32_sdwa v9, v16, v9 dst_sel:WORD_1 dst_unused:UNUSED_PAD src0_sel:DWORD src1_sel:DWORD
	v_or_b32_sdwa v15, v20, v10 dst_sel:WORD_1 dst_unused:UNUSED_PAD src0_sel:DWORD src1_sel:DWORD
	s_waitcnt lgkmcnt(0)
	s_barrier
	s_and_saveexec_b64 s[10:11], vcc
	s_cbranch_execz .LBB48_84
; %bb.81:
	ds_read_u16 v7, v7 offset:470
	s_mov_b64 s[14:15], -1
	s_waitcnt lgkmcnt(0)
	v_cmp_ne_u16_e32 vcc, v7, v6
	s_and_saveexec_b64 s[12:13], vcc
; %bb.82:
	s_movk_i32 s14, 0xcccd
	v_mov_b32_e32 v7, 0x3335
	v_mad_legacy_u16 v7, v1, s14, v7
	v_lshlrev_b16_e32 v10, 15, v7
	v_lshrrev_b16_e32 v7, 1, v7
	v_or_b32_e32 v7, v7, v10
	s_movk_i32 s14, 0x199a
	v_cmp_gt_u16_e32 vcc, s14, v7
	s_orn2_b64 s[14:15], vcc, exec
; %bb.83:
	s_or_b64 exec, exec, s[12:13]
	v_cndmask_b32_e64 v13, 0, 1, s[14:15]
.LBB48_84:
	s_or_b64 exec, exec, s[10:11]
	v_cndmask_b32_e64 v10, 0, 1, s[6:7]
	v_or_b32_sdwa v9, v8, v9 dst_sel:DWORD dst_unused:UNUSED_PAD src0_sel:WORD_0 src1_sel:DWORD
	v_or_b32_sdwa v8, v14, v15 dst_sel:DWORD dst_unused:UNUSED_PAD src0_sel:WORD_0 src1_sel:DWORD
	s_cbranch_execnz .LBB48_167
.LBB48_85:
	s_cmp_eq_u32 s33, 1
	s_waitcnt vmcnt(0)
	v_cmp_ne_u16_sdwa s[6:7], v6, v5 src0_sel:DWORD src1_sel:WORD_1
	v_lshlrev_b32_e32 v7, 1, v0
	s_cbranch_scc1 .LBB48_127
; %bb.86:
	s_add_i32 s10, s4, 0x83a
	s_mov_b32 s11, 0
	s_lshl_b64 s[10:11], s[10:11], 1
	s_add_u32 s10, s0, s10
	s_addc_u32 s11, s1, s11
	v_mov_b32_e32 v8, 0
	global_load_ushort v11, v8, s[10:11]
	s_mov_b64 s[20:21], -1
	s_mov_b64 s[16:17], -1
	ds_write_b16 v7, v6
	s_and_saveexec_b64 s[10:11], s[6:7]
; %bb.87:
	s_movk_i32 s12, 0xcccd
	v_mov_b32_e32 v8, 0x6668
	v_mad_legacy_u16 v8, v1, s12, v8
	v_lshlrev_b16_e32 v9, 15, v8
	v_lshrrev_b16_e32 v8, 1, v8
	v_or_b32_e32 v8, v8, v9
	s_movk_i32 s12, 0x199a
	v_cmp_gt_u16_e32 vcc, s12, v8
	s_orn2_b64 s[16:17], vcc, exec
; %bb.88:
	s_or_b64 exec, exec, s[10:11]
	v_cmp_ne_u16_sdwa s[10:11], v5, v5 src0_sel:WORD_1 src1_sel:DWORD
	s_and_saveexec_b64 s[12:13], s[10:11]
; %bb.89:
	s_movk_i32 s14, 0xcccd
	v_mov_b32_e32 v8, 0xffff999b
	v_mad_legacy_u16 v8, v1, s14, v8
	v_lshlrev_b16_e32 v9, 15, v8
	v_lshrrev_b16_e32 v8, 1, v8
	v_or_b32_e32 v8, v8, v9
	s_movk_i32 s14, 0x199a
	v_cmp_gt_u16_e32 vcc, s14, v8
	s_orn2_b64 s[20:21], vcc, exec
; %bb.90:
	s_or_b64 exec, exec, s[12:13]
	v_cmp_ne_u16_sdwa s[12:13], v5, v4 src0_sel:DWORD src1_sel:WORD_1
	s_mov_b64 s[26:27], -1
	s_mov_b64 s[28:29], -1
	s_and_saveexec_b64 s[14:15], s[12:13]
; %bb.91:
	s_movk_i32 s18, 0xcccd
	v_mov_b32_e32 v8, 0xffffccce
	v_mad_legacy_u16 v8, v1, s18, v8
	v_lshlrev_b16_e32 v9, 15, v8
	v_lshrrev_b16_e32 v8, 1, v8
	v_or_b32_e32 v8, v8, v9
	s_movk_i32 s18, 0x199a
	v_cmp_gt_u16_e32 vcc, s18, v8
	s_orn2_b64 s[28:29], vcc, exec
; %bb.92:
	s_or_b64 exec, exec, s[14:15]
	v_cmp_ne_u16_sdwa s[14:15], v4, v4 src0_sel:WORD_1 src1_sel:DWORD
	s_and_saveexec_b64 s[18:19], s[14:15]
; %bb.93:
	s_movk_i32 s22, 0xcccd
	v_mad_legacy_u16 v8, v1, s22, 1
	v_lshlrev_b16_e32 v9, 15, v8
	v_lshrrev_b16_e32 v8, 1, v8
	v_or_b32_e32 v8, v8, v9
	s_movk_i32 s22, 0x199a
	v_cmp_gt_u16_e32 vcc, s22, v8
	s_orn2_b64 s[26:27], vcc, exec
; %bb.94:
	s_or_b64 exec, exec, s[18:19]
	v_cmp_ne_u16_sdwa s[18:19], v4, v3 src0_sel:DWORD src1_sel:WORD_1
	s_mov_b64 s[36:37], -1
	s_mov_b64 s[34:35], -1
	s_and_saveexec_b64 s[22:23], s[18:19]
; %bb.95:
	s_movk_i32 s24, 0xcccd
	v_mov_b32_e32 v8, 0x3334
	v_mad_legacy_u16 v8, v1, s24, v8
	v_lshlrev_b16_e32 v9, 15, v8
	v_lshrrev_b16_e32 v8, 1, v8
	v_or_b32_e32 v8, v8, v9
	s_movk_i32 s24, 0x199a
	v_cmp_gt_u16_e32 vcc, s24, v8
	s_orn2_b64 s[34:35], vcc, exec
; %bb.96:
	s_or_b64 exec, exec, s[22:23]
	v_cmp_ne_u16_sdwa s[22:23], v3, v3 src0_sel:WORD_1 src1_sel:DWORD
	s_and_saveexec_b64 s[24:25], s[22:23]
; %bb.97:
	s_movk_i32 s30, 0xcccd
	v_mov_b32_e32 v8, 0x6667
	v_mad_legacy_u16 v8, v1, s30, v8
	v_lshlrev_b16_e32 v9, 15, v8
	v_lshrrev_b16_e32 v8, 1, v8
	v_or_b32_e32 v8, v8, v9
	s_movk_i32 s30, 0x199a
	v_cmp_gt_u16_e32 vcc, s30, v8
	s_orn2_b64 s[36:37], vcc, exec
; %bb.98:
	s_or_b64 exec, exec, s[24:25]
	v_cmp_ne_u16_sdwa s[24:25], v3, v2 src0_sel:DWORD src1_sel:WORD_1
	s_mov_b64 s[38:39], -1
	s_mov_b64 s[40:41], -1
	s_and_saveexec_b64 s[30:31], s[24:25]
; %bb.99:
	s_movk_i32 s33, 0xcccd
	v_mov_b32_e32 v8, 0xffff999a
	v_mad_legacy_u16 v8, v1, s33, v8
	v_lshlrev_b16_e32 v9, 15, v8
	v_lshrrev_b16_e32 v8, 1, v8
	v_or_b32_e32 v8, v8, v9
	s_movk_i32 s33, 0x199a
	v_cmp_gt_u16_e32 vcc, s33, v8
	s_orn2_b64 s[40:41], vcc, exec
; %bb.100:
	s_or_b64 exec, exec, s[30:31]
	v_cmp_ne_u16_sdwa s[30:31], v2, v2 src0_sel:WORD_1 src1_sel:DWORD
	s_and_saveexec_b64 s[42:43], s[30:31]
; %bb.101:
	s_movk_i32 s33, 0xcccd
	v_mad_legacy_u16 v8, v1, s33, s33
	v_lshlrev_b16_e32 v9, 15, v8
	v_lshrrev_b16_e32 v8, 1, v8
	v_or_b32_e32 v8, v8, v9
	s_movk_i32 s33, 0x199a
	v_cmp_gt_u16_e32 vcc, s33, v8
	s_orn2_b64 s[38:39], vcc, exec
; %bb.102:
	s_or_b64 exec, exec, s[42:43]
	v_cndmask_b32_e64 v9, 0, 1, s[36:37]
	v_cndmask_b32_e64 v15, 0, 1, s[38:39]
	v_cndmask_b32_e64 v8, 0, 1, s[40:41]
	v_lshlrev_b16_e32 v15, 8, v15
	v_lshlrev_b16_e32 v9, 8, v9
	v_cndmask_b32_e64 v12, 0, 1, s[26:27]
	v_or_b32_e32 v15, 1, v15
	v_or_b32_sdwa v8, v8, v9 dst_sel:WORD_1 dst_unused:UNUSED_PAD src0_sel:DWORD src1_sel:DWORD
	v_cndmask_b32_e64 v10, 0, 1, s[34:35]
	v_cndmask_b32_e64 v14, 0, 1, s[20:21]
	v_or_b32_sdwa v9, v15, v8 dst_sel:DWORD dst_unused:UNUSED_PAD src0_sel:WORD_0 src1_sel:DWORD
	v_lshlrev_b16_e32 v8, 8, v12
	v_cndmask_b32_e64 v13, 0, 1, s[28:29]
	v_or_b32_e32 v8, v10, v8
	v_lshlrev_b16_e32 v10, 8, v14
	v_or_b32_sdwa v10, v13, v10 dst_sel:WORD_1 dst_unused:UNUSED_PAD src0_sel:DWORD src1_sel:DWORD
	v_or_b32_sdwa v8, v8, v10 dst_sel:DWORD dst_unused:UNUSED_PAD src0_sel:WORD_0 src1_sel:DWORD
	v_cmp_ne_u32_e32 vcc, 0, v0
	s_waitcnt lgkmcnt(0)
	s_barrier
	s_and_saveexec_b64 s[20:21], vcc
	s_cbranch_execz .LBB48_106
; %bb.103:
	v_add_u32_e32 v10, -2, v7
	ds_read_u16 v10, v10
	s_mov_b64 s[28:29], -1
	s_waitcnt lgkmcnt(0)
	v_cmp_ne_u16_e32 vcc, v2, v10
	s_and_saveexec_b64 s[26:27], vcc
; %bb.104:
	v_mul_lo_u16_e32 v10, 0xcccd, v1
	v_lshlrev_b16_e32 v12, 15, v10
	v_lshrrev_b16_e32 v10, 1, v10
	v_or_b32_e32 v10, v10, v12
	s_movk_i32 s28, 0x199a
	v_cmp_gt_u16_e32 vcc, s28, v10
	s_orn2_b64 s[28:29], vcc, exec
; %bb.105:
	s_or_b64 exec, exec, s[26:27]
	v_lshrrev_b32_e32 v12, 24, v9
	s_movk_i32 s26, 0xff
	v_lshlrev_b16_e32 v12, 8, v12
	v_and_b32_sdwa v13, v9, s26 dst_sel:DWORD dst_unused:UNUSED_PAD src0_sel:WORD_1 src1_sel:DWORD
	v_or_b32_sdwa v12, v13, v12 dst_sel:WORD_1 dst_unused:UNUSED_PAD src0_sel:DWORD src1_sel:DWORD
	v_mov_b32_e32 v13, 8
	v_cndmask_b32_e64 v10, 0, 1, s[28:29]
	v_lshrrev_b32_sdwa v9, v13, v9 dst_sel:BYTE_1 dst_unused:UNUSED_PAD src0_sel:DWORD src1_sel:DWORD
	v_or_b32_e32 v9, v10, v9
	v_or_b32_sdwa v9, v9, v12 dst_sel:DWORD dst_unused:UNUSED_PAD src0_sel:WORD_0 src1_sel:DWORD
.LBB48_106:
	s_or_b64 exec, exec, s[20:21]
	v_cndmask_b32_e64 v10, 0, 1, s[16:17]
	s_mov_b64 s[16:17], -1
	s_mov_b64 s[20:21], -1
	ds_write_b16 v7, v2 offset:468
	s_and_saveexec_b64 s[26:27], s[30:31]
; %bb.107:
	s_movk_i32 s20, 0xcccd
	v_mad_legacy_u16 v12, v1, s20, s20
	v_lshlrev_b16_e32 v13, 15, v12
	v_lshrrev_b16_e32 v12, 1, v12
	v_or_b32_e32 v12, v12, v13
	s_movk_i32 s20, 0x199a
	v_cmp_gt_u16_e32 vcc, s20, v12
	s_orn2_b64 s[20:21], vcc, exec
; %bb.108:
	s_or_b64 exec, exec, s[26:27]
	s_and_saveexec_b64 s[26:27], s[24:25]
; %bb.109:
	s_movk_i32 s16, 0xcccd
	v_mov_b32_e32 v12, 0xffff999a
	v_mad_legacy_u16 v12, v1, s16, v12
	v_lshlrev_b16_e32 v13, 15, v12
	v_lshrrev_b16_e32 v12, 1, v12
	v_or_b32_e32 v12, v12, v13
	s_movk_i32 s16, 0x199a
	v_cmp_gt_u16_e32 vcc, s16, v12
	s_orn2_b64 s[16:17], vcc, exec
; %bb.110:
	s_or_b64 exec, exec, s[26:27]
	s_mov_b64 s[24:25], -1
	s_mov_b64 s[26:27], -1
	s_and_saveexec_b64 s[28:29], s[22:23]
; %bb.111:
	s_movk_i32 s22, 0xcccd
	v_mov_b32_e32 v12, 0x6667
	v_mad_legacy_u16 v12, v1, s22, v12
	v_lshlrev_b16_e32 v13, 15, v12
	v_lshrrev_b16_e32 v12, 1, v12
	v_or_b32_e32 v12, v12, v13
	s_movk_i32 s22, 0x199a
	v_cmp_gt_u16_e32 vcc, s22, v12
	s_orn2_b64 s[26:27], vcc, exec
; %bb.112:
	s_or_b64 exec, exec, s[28:29]
	s_and_saveexec_b64 s[22:23], s[18:19]
; %bb.113:
	s_movk_i32 s18, 0xcccd
	v_mov_b32_e32 v12, 0x3334
	v_mad_legacy_u16 v12, v1, s18, v12
	v_lshlrev_b16_e32 v13, 15, v12
	v_lshrrev_b16_e32 v12, 1, v12
	v_or_b32_e32 v12, v12, v13
	s_movk_i32 s18, 0x199a
	v_cmp_gt_u16_e32 vcc, s18, v12
	s_orn2_b64 s[24:25], vcc, exec
; %bb.114:
	s_or_b64 exec, exec, s[22:23]
	s_mov_b64 s[18:19], -1
	s_mov_b64 s[22:23], -1
	s_and_saveexec_b64 s[28:29], s[14:15]
; %bb.115:
	s_movk_i32 s14, 0xcccd
	v_mad_legacy_u16 v12, v1, s14, 1
	v_lshlrev_b16_e32 v13, 15, v12
	v_lshrrev_b16_e32 v12, 1, v12
	v_or_b32_e32 v12, v12, v13
	s_movk_i32 s14, 0x199a
	v_cmp_gt_u16_e32 vcc, s14, v12
	s_orn2_b64 s[22:23], vcc, exec
; %bb.116:
	s_or_b64 exec, exec, s[28:29]
	s_and_saveexec_b64 s[14:15], s[12:13]
; %bb.117:
	s_movk_i32 s12, 0xcccd
	v_mov_b32_e32 v12, 0xffffccce
	v_mad_legacy_u16 v12, v1, s12, v12
	v_lshlrev_b16_e32 v13, 15, v12
	v_lshrrev_b16_e32 v12, 1, v12
	v_or_b32_e32 v12, v12, v13
	s_movk_i32 s12, 0x199a
	v_cmp_gt_u16_e32 vcc, s12, v12
	s_orn2_b64 s[18:19], vcc, exec
; %bb.118:
	s_or_b64 exec, exec, s[14:15]
	s_mov_b64 s[12:13], -1
	s_mov_b64 s[14:15], -1
	s_and_saveexec_b64 s[28:29], s[10:11]
; %bb.119:
	s_movk_i32 s10, 0xcccd
	v_mov_b32_e32 v12, 0xffff999b
	v_mad_legacy_u16 v12, v1, s10, v12
	v_lshlrev_b16_e32 v13, 15, v12
	v_lshrrev_b16_e32 v12, 1, v12
	v_or_b32_e32 v12, v12, v13
	s_movk_i32 s10, 0x199a
	v_cmp_gt_u16_e32 vcc, s10, v12
	s_orn2_b64 s[14:15], vcc, exec
; %bb.120:
	s_or_b64 exec, exec, s[28:29]
	s_and_saveexec_b64 s[10:11], s[6:7]
; %bb.121:
	s_movk_i32 s6, 0xcccd
	v_mov_b32_e32 v12, 0x6668
	v_mad_legacy_u16 v12, v1, s6, v12
	v_lshlrev_b16_e32 v13, 15, v12
	v_lshrrev_b16_e32 v12, 1, v12
	v_or_b32_e32 v12, v12, v13
	s_movk_i32 s6, 0x199a
	v_cmp_gt_u16_e32 vcc, s6, v12
	s_orn2_b64 s[12:13], vcc, exec
; %bb.122:
	s_or_b64 exec, exec, s[10:11]
	s_movk_i32 s6, 0xe9
	v_cmp_ne_u32_e32 vcc, s6, v0
	s_waitcnt lgkmcnt(0)
	s_barrier
	s_and_saveexec_b64 s[6:7], vcc
	s_cbranch_execz .LBB48_124
; %bb.123:
	s_waitcnt vmcnt(0)
	ds_read_u16 v11, v7 offset:470
.LBB48_124:
	s_or_b64 exec, exec, s[6:7]
	s_waitcnt vmcnt(0) lgkmcnt(0)
	v_cmp_ne_u16_e32 vcc, v11, v6
	s_mov_b64 s[6:7], -1
	s_and_saveexec_b64 s[10:11], vcc
; %bb.125:
	s_movk_i32 s6, 0xcccd
	v_mov_b32_e32 v11, 0x3335
	v_mad_legacy_u16 v11, v1, s6, v11
	v_lshlrev_b16_e32 v12, 15, v11
	v_lshrrev_b16_e32 v11, 1, v11
	v_or_b32_e32 v11, v11, v12
	s_movk_i32 s6, 0x199a
	v_cmp_gt_u16_e32 vcc, s6, v11
	s_orn2_b64 s[6:7], vcc, exec
; %bb.126:
	s_or_b64 exec, exec, s[10:11]
	v_cndmask_b32_e64 v12, 0, 1, s[16:17]
	v_cndmask_b32_e64 v11, 0, 1, s[20:21]
	;; [unrolled: 1-line block ×3, first 2 shown]
	v_lshlrev_b16_e32 v12, 8, v12
	v_cndmask_b32_e64 v14, 0, 1, s[26:27]
	v_or_b32_e32 v11, v11, v12
	v_lshlrev_b16_e32 v12, 8, v15
	v_cndmask_b32_e64 v17, 0, 1, s[18:19]
	v_cndmask_b32_e64 v19, 0, 1, s[12:13]
	v_or_b32_sdwa v12, v14, v12 dst_sel:WORD_1 dst_unused:UNUSED_PAD src0_sel:DWORD src1_sel:DWORD
	v_cndmask_b32_e64 v16, 0, 1, s[22:23]
	v_cndmask_b32_e64 v18, 0, 1, s[14:15]
	v_or_b32_sdwa v11, v11, v12 dst_sel:DWORD dst_unused:UNUSED_PAD src0_sel:WORD_0 src1_sel:DWORD
	v_lshlrev_b16_e32 v12, 8, v17
	v_lshlrev_b16_e32 v14, 8, v19
	v_or_b32_e32 v12, v16, v12
	v_or_b32_sdwa v14, v18, v14 dst_sel:WORD_1 dst_unused:UNUSED_PAD src0_sel:DWORD src1_sel:DWORD
	v_cndmask_b32_e64 v13, 0, 1, s[6:7]
	v_or_b32_sdwa v12, v12, v14 dst_sel:DWORD dst_unused:UNUSED_PAD src0_sel:WORD_0 src1_sel:DWORD
	s_branch .LBB48_167
.LBB48_127:
                                        ; implicit-def: $vgpr10
                                        ; implicit-def: $vgpr8
                                        ; implicit-def: $vgpr9
                                        ; implicit-def: $vgpr13
                                        ; implicit-def: $vgpr12
                                        ; implicit-def: $vgpr11
	s_cbranch_execz .LBB48_167
; %bb.128:
	s_add_i32 s6, s4, -1
	s_mov_b32 s7, 0
	s_lshl_b64 s[10:11], s[6:7], 1
	s_add_u32 s10, s0, s10
	s_addc_u32 s11, s1, s11
	s_add_i32 s6, s4, 0x83a
	s_lshl_b64 s[6:7], s[6:7], 1
	v_mov_b32_e32 v10, 0
	s_add_u32 s0, s0, s6
	s_addc_u32 s1, s1, s7
	global_load_ushort v9, v10, s[10:11]
	global_load_ushort v8, v10, s[0:1]
	v_cmp_ne_u16_sdwa s[14:15], v6, v5 src0_sel:DWORD src1_sel:WORD_1
	s_mov_b64 s[6:7], -1
	s_mov_b64 s[0:1], -1
	ds_write_b16 v7, v6
	s_and_saveexec_b64 s[10:11], s[14:15]
; %bb.129:
	s_movk_i32 s0, 0xcccd
	v_mov_b32_e32 v10, 0x6668
	v_mad_legacy_u16 v10, v1, s0, v10
	v_lshlrev_b16_e32 v11, 15, v10
	v_lshrrev_b16_e32 v10, 1, v10
	v_or_b32_e32 v10, v10, v11
	s_movk_i32 s0, 0x199a
	v_cmp_gt_u16_e32 vcc, s0, v10
	s_orn2_b64 s[0:1], vcc, exec
; %bb.130:
	s_or_b64 exec, exec, s[10:11]
	v_cmp_ne_u16_sdwa s[20:21], v5, v5 src0_sel:WORD_1 src1_sel:DWORD
	s_and_saveexec_b64 s[10:11], s[20:21]
; %bb.131:
	s_movk_i32 s6, 0xcccd
	v_mov_b32_e32 v10, 0xffff999b
	v_mad_legacy_u16 v10, v1, s6, v10
	v_lshlrev_b16_e32 v11, 15, v10
	v_lshrrev_b16_e32 v10, 1, v10
	v_or_b32_e32 v10, v10, v11
	s_movk_i32 s6, 0x199a
	v_cmp_gt_u16_e32 vcc, s6, v10
	s_orn2_b64 s[6:7], vcc, exec
; %bb.132:
	s_or_b64 exec, exec, s[10:11]
	v_cmp_ne_u16_sdwa s[26:27], v5, v4 src0_sel:DWORD src1_sel:WORD_1
	s_mov_b64 s[10:11], -1
	s_mov_b64 s[12:13], -1
	s_and_saveexec_b64 s[16:17], s[26:27]
; %bb.133:
	s_movk_i32 s12, 0xcccd
	v_mov_b32_e32 v5, 0xffffccce
	v_mad_legacy_u16 v5, v1, s12, v5
	v_lshlrev_b16_e32 v10, 15, v5
	v_lshrrev_b16_e32 v5, 1, v5
	v_or_b32_e32 v5, v5, v10
	s_movk_i32 s12, 0x199a
	v_cmp_gt_u16_e32 vcc, s12, v5
	s_orn2_b64 s[12:13], vcc, exec
; %bb.134:
	s_or_b64 exec, exec, s[16:17]
	v_cmp_ne_u16_sdwa s[30:31], v4, v4 src0_sel:WORD_1 src1_sel:DWORD
	s_and_saveexec_b64 s[16:17], s[30:31]
; %bb.135:
	s_movk_i32 s10, 0xcccd
	v_mad_legacy_u16 v5, v1, s10, 1
	v_lshlrev_b16_e32 v10, 15, v5
	v_lshrrev_b16_e32 v5, 1, v5
	v_or_b32_e32 v5, v5, v10
	s_movk_i32 s10, 0x199a
	v_cmp_gt_u16_e32 vcc, s10, v5
	s_orn2_b64 s[10:11], vcc, exec
; %bb.136:
	s_or_b64 exec, exec, s[16:17]
	v_cmp_ne_u16_sdwa s[36:37], v4, v3 src0_sel:DWORD src1_sel:WORD_1
	s_mov_b64 s[18:19], -1
	s_mov_b64 s[16:17], -1
	s_and_saveexec_b64 s[22:23], s[36:37]
; %bb.137:
	s_movk_i32 s16, 0xcccd
	v_mov_b32_e32 v4, 0x3334
	v_mad_legacy_u16 v4, v1, s16, v4
	v_lshlrev_b16_e32 v5, 15, v4
	v_lshrrev_b16_e32 v4, 1, v4
	v_or_b32_e32 v4, v4, v5
	s_movk_i32 s16, 0x199a
	v_cmp_gt_u16_e32 vcc, s16, v4
	s_orn2_b64 s[16:17], vcc, exec
; %bb.138:
	s_or_b64 exec, exec, s[22:23]
	v_cmp_ne_u16_sdwa s[42:43], v3, v3 src0_sel:WORD_1 src1_sel:DWORD
	s_and_saveexec_b64 s[22:23], s[42:43]
; %bb.139:
	s_movk_i32 s18, 0xcccd
	v_mov_b32_e32 v4, 0x6667
	v_mad_legacy_u16 v4, v1, s18, v4
	v_lshlrev_b16_e32 v5, 15, v4
	v_lshrrev_b16_e32 v4, 1, v4
	v_or_b32_e32 v4, v4, v5
	s_movk_i32 s18, 0x199a
	v_cmp_gt_u16_e32 vcc, s18, v4
	s_orn2_b64 s[18:19], vcc, exec
; %bb.140:
	s_or_b64 exec, exec, s[22:23]
	v_cmp_ne_u16_sdwa s[44:45], v3, v2 src0_sel:DWORD src1_sel:WORD_1
	s_mov_b64 s[22:23], -1
	s_mov_b64 s[24:25], -1
	s_and_saveexec_b64 s[28:29], s[44:45]
; %bb.141:
	s_movk_i32 s24, 0xcccd
	v_mov_b32_e32 v3, 0xffff999a
	v_mad_legacy_u16 v3, v1, s24, v3
	v_lshlrev_b16_e32 v4, 15, v3
	v_lshrrev_b16_e32 v3, 1, v3
	v_or_b32_e32 v3, v3, v4
	s_movk_i32 s24, 0x199a
	v_cmp_gt_u16_e32 vcc, s24, v3
	s_orn2_b64 s[24:25], vcc, exec
; %bb.142:
	s_or_b64 exec, exec, s[28:29]
	v_cmp_ne_u16_sdwa s[38:39], v2, v2 src0_sel:WORD_1 src1_sel:DWORD
	s_and_saveexec_b64 s[28:29], s[38:39]
; %bb.143:
	s_movk_i32 s22, 0xcccd
	v_mad_legacy_u16 v3, v1, s22, s22
	v_lshlrev_b16_e32 v4, 15, v3
	v_lshrrev_b16_e32 v3, 1, v3
	v_or_b32_e32 v3, v3, v4
	s_movk_i32 s22, 0x199a
	v_cmp_gt_u16_e32 vcc, s22, v3
	s_orn2_b64 s[22:23], vcc, exec
; %bb.144:
	s_or_b64 exec, exec, s[28:29]
	v_cmp_ne_u32_e32 vcc, 0, v0
	s_waitcnt lgkmcnt(0)
	s_barrier
	s_and_saveexec_b64 s[28:29], vcc
	s_cbranch_execz .LBB48_146
; %bb.145:
	v_add_u32_e32 v3, -2, v7
	s_waitcnt vmcnt(1)
	ds_read_u16 v9, v3
.LBB48_146:
	s_or_b64 exec, exec, s[28:29]
	s_waitcnt vmcnt(1) lgkmcnt(0)
	v_cmp_ne_u16_e32 vcc, v2, v9
	s_mov_b64 s[34:35], -1
	s_mov_b64 s[28:29], -1
	s_and_saveexec_b64 s[40:41], vcc
; %bb.147:
	v_mul_lo_u16_e32 v3, 0xcccd, v1
	v_lshlrev_b16_e32 v4, 15, v3
	v_lshrrev_b16_e32 v3, 1, v3
	v_or_b32_e32 v3, v3, v4
	s_movk_i32 s28, 0x199a
	v_cmp_gt_u16_e32 vcc, s28, v3
	s_orn2_b64 s[28:29], vcc, exec
; %bb.148:
	s_or_b64 exec, exec, s[40:41]
	ds_write_b16 v7, v2 offset:468
	s_and_saveexec_b64 s[40:41], s[38:39]
; %bb.149:
	s_movk_i32 s33, 0xcccd
	v_mad_legacy_u16 v2, v1, s33, s33
	v_lshlrev_b16_e32 v3, 15, v2
	v_lshrrev_b16_e32 v2, 1, v2
	v_or_b32_e32 v2, v2, v3
	s_movk_i32 s33, 0x199a
	v_cmp_gt_u16_e32 vcc, s33, v2
	s_orn2_b64 s[34:35], vcc, exec
; %bb.150:
	s_or_b64 exec, exec, s[40:41]
	s_mov_b64 s[38:39], -1
	s_mov_b64 s[40:41], -1
	s_and_saveexec_b64 s[46:47], s[44:45]
; %bb.151:
	s_movk_i32 s33, 0xcccd
	v_mov_b32_e32 v2, 0xffff999a
	v_mad_legacy_u16 v2, v1, s33, v2
	v_lshlrev_b16_e32 v3, 15, v2
	v_lshrrev_b16_e32 v2, 1, v2
	v_or_b32_e32 v2, v2, v3
	s_movk_i32 s33, 0x199a
	v_cmp_gt_u16_e32 vcc, s33, v2
	s_orn2_b64 s[40:41], vcc, exec
; %bb.152:
	s_or_b64 exec, exec, s[46:47]
	s_and_saveexec_b64 s[44:45], s[42:43]
; %bb.153:
	s_movk_i32 s33, 0xcccd
	v_mov_b32_e32 v2, 0x6667
	v_mad_legacy_u16 v2, v1, s33, v2
	v_lshlrev_b16_e32 v3, 15, v2
	v_lshrrev_b16_e32 v2, 1, v2
	v_or_b32_e32 v2, v2, v3
	s_movk_i32 s33, 0x199a
	v_cmp_gt_u16_e32 vcc, s33, v2
	s_orn2_b64 s[38:39], vcc, exec
; %bb.154:
	s_or_b64 exec, exec, s[44:45]
	s_mov_b64 s[42:43], -1
	s_mov_b64 s[44:45], -1
	s_and_saveexec_b64 s[46:47], s[36:37]
; %bb.155:
	s_movk_i32 s33, 0xcccd
	v_mov_b32_e32 v2, 0x3334
	v_mad_legacy_u16 v2, v1, s33, v2
	v_lshlrev_b16_e32 v3, 15, v2
	v_lshrrev_b16_e32 v2, 1, v2
	v_or_b32_e32 v2, v2, v3
	s_movk_i32 s33, 0x199a
	v_cmp_gt_u16_e32 vcc, s33, v2
	s_orn2_b64 s[44:45], vcc, exec
; %bb.156:
	s_or_b64 exec, exec, s[46:47]
	s_and_saveexec_b64 s[36:37], s[30:31]
; %bb.157:
	s_movk_i32 s30, 0xcccd
	v_mad_legacy_u16 v2, v1, s30, 1
	v_lshlrev_b16_e32 v3, 15, v2
	v_lshrrev_b16_e32 v2, 1, v2
	v_or_b32_e32 v2, v2, v3
	s_movk_i32 s30, 0x199a
	v_cmp_gt_u16_e32 vcc, s30, v2
	s_orn2_b64 s[42:43], vcc, exec
; %bb.158:
	s_or_b64 exec, exec, s[36:37]
	s_mov_b64 s[30:31], -1
	s_mov_b64 s[36:37], -1
	s_and_saveexec_b64 s[46:47], s[26:27]
	s_cbranch_execnz .LBB48_170
; %bb.159:
	s_or_b64 exec, exec, s[46:47]
	s_and_saveexec_b64 s[26:27], s[20:21]
	s_cbranch_execnz .LBB48_171
.LBB48_160:
	s_or_b64 exec, exec, s[26:27]
	s_mov_b64 s[20:21], -1
	s_and_saveexec_b64 s[26:27], s[14:15]
.LBB48_161:
	s_movk_i32 s14, 0xcccd
	v_mov_b32_e32 v2, 0x6668
	v_mad_legacy_u16 v2, v1, s14, v2
	v_lshlrev_b16_e32 v3, 15, v2
	v_lshrrev_b16_e32 v2, 1, v2
	v_or_b32_e32 v2, v2, v3
	s_movk_i32 s14, 0x199a
	v_cmp_gt_u16_e32 vcc, s14, v2
	s_orn2_b64 s[20:21], vcc, exec
.LBB48_162:
	s_or_b64 exec, exec, s[26:27]
	s_movk_i32 s14, 0xe9
	v_cmp_ne_u32_e32 vcc, s14, v0
	s_waitcnt lgkmcnt(0)
	s_barrier
	s_and_saveexec_b64 s[14:15], vcc
	s_cbranch_execz .LBB48_164
; %bb.163:
	s_waitcnt vmcnt(0)
	ds_read_u16 v8, v7 offset:470
.LBB48_164:
	s_or_b64 exec, exec, s[14:15]
	s_waitcnt vmcnt(0) lgkmcnt(0)
	v_cmp_ne_u16_e32 vcc, v8, v6
	s_mov_b64 s[14:15], -1
	s_and_saveexec_b64 s[26:27], vcc
; %bb.165:
	s_movk_i32 s14, 0xcccd
	v_mov_b32_e32 v0, 0x3335
	v_mad_legacy_u16 v0, v1, s14, v0
	v_lshlrev_b16_e32 v2, 15, v0
	v_lshrrev_b16_e32 v0, 1, v0
	v_or_b32_e32 v0, v0, v2
	s_movk_i32 s14, 0x199a
	v_cmp_gt_u16_e32 vcc, s14, v0
	s_orn2_b64 s[14:15], vcc, exec
; %bb.166:
	s_or_b64 exec, exec, s[26:27]
	v_cndmask_b32_e64 v2, 0, 1, s[40:41]
	v_cndmask_b32_e64 v0, 0, 1, s[34:35]
	;; [unrolled: 1-line block ×3, first 2 shown]
	v_lshlrev_b16_e32 v2, 8, v2
	v_cndmask_b32_e64 v3, 0, 1, s[38:39]
	v_or_b32_e32 v0, v0, v2
	v_lshlrev_b16_e32 v2, 8, v4
	v_cndmask_b32_e64 v6, 0, 1, s[36:37]
	v_cndmask_b32_e64 v8, 0, 1, s[20:21]
	v_or_b32_sdwa v2, v3, v2 dst_sel:WORD_1 dst_unused:UNUSED_PAD src0_sel:DWORD src1_sel:DWORD
	v_cndmask_b32_e64 v5, 0, 1, s[42:43]
	v_cndmask_b32_e64 v7, 0, 1, s[30:31]
	v_or_b32_sdwa v11, v0, v2 dst_sel:DWORD dst_unused:UNUSED_PAD src0_sel:WORD_0 src1_sel:DWORD
	v_lshlrev_b16_e32 v0, 8, v6
	v_lshlrev_b16_e32 v2, 8, v8
	v_cndmask_b32_e64 v9, 0, 1, s[22:23]
	v_cndmask_b32_e64 v15, 0, 1, s[18:19]
	v_or_b32_e32 v0, v5, v0
	v_or_b32_sdwa v2, v7, v2 dst_sel:WORD_1 dst_unused:UNUSED_PAD src0_sel:DWORD src1_sel:DWORD
	v_cndmask_b32_e64 v14, 0, 1, s[24:25]
	v_cndmask_b32_e64 v20, 0, 1, s[28:29]
	v_or_b32_sdwa v12, v0, v2 dst_sel:DWORD dst_unused:UNUSED_PAD src0_sel:WORD_0 src1_sel:DWORD
	v_lshlrev_b16_e32 v0, 8, v9
	v_lshlrev_b16_e32 v2, 8, v15
	v_cndmask_b32_e64 v17, 0, 1, s[10:11]
	v_cndmask_b32_e64 v19, 0, 1, s[6:7]
	v_or_b32_e32 v0, v20, v0
	v_or_b32_sdwa v2, v14, v2 dst_sel:WORD_1 dst_unused:UNUSED_PAD src0_sel:DWORD src1_sel:DWORD
	v_cndmask_b32_e64 v16, 0, 1, s[16:17]
	v_cndmask_b32_e64 v18, 0, 1, s[12:13]
	v_or_b32_sdwa v9, v0, v2 dst_sel:DWORD dst_unused:UNUSED_PAD src0_sel:WORD_0 src1_sel:DWORD
	v_lshlrev_b16_e32 v0, 8, v17
	v_lshlrev_b16_e32 v2, 8, v19
	v_or_b32_e32 v0, v16, v0
	v_or_b32_sdwa v2, v18, v2 dst_sel:WORD_1 dst_unused:UNUSED_PAD src0_sel:DWORD src1_sel:DWORD
	v_cndmask_b32_e64 v10, 0, 1, s[0:1]
	v_cndmask_b32_e64 v13, 0, 1, s[14:15]
	v_or_b32_sdwa v8, v0, v2 dst_sel:DWORD dst_unused:UNUSED_PAD src0_sel:WORD_0 src1_sel:DWORD
.LBB48_167:
	s_lshl_b64 s[0:1], s[4:5], 3
	s_add_u32 s2, s2, s0
	s_waitcnt vmcnt(1)
	v_lshlrev_b32_e32 v4, 3, v1
	v_mov_b32_e32 v1, 0
	s_addc_u32 s3, s3, s1
	v_and_b32_e32 v0, 0xff, v9
	v_bfe_u32 v2, v9, 8, 8
	v_mov_b32_e32 v3, v1
	global_store_dwordx4 v4, v[0:3], s[2:3]
	s_add_u32 s0, s8, s0
	v_lshrrev_b32_e32 v2, 24, v9
	v_bfe_u32 v0, v9, 16, 8
	global_store_dwordx4 v4, v[0:3], s[2:3] offset:16
	s_addc_u32 s1, s9, s1
	v_and_b32_e32 v0, 0xff, v8
	v_bfe_u32 v2, v8, 8, 8
	global_store_dwordx4 v4, v[0:3], s[2:3] offset:32
	s_nop 0
	v_lshrrev_b32_e32 v2, 24, v8
	v_bfe_u32 v0, v8, 16, 8
	global_store_dwordx4 v4, v[0:3], s[2:3] offset:48
	s_nop 0
	v_and_b32_e32 v0, 0xff, v10
	global_store_dwordx2 v4, v[0:1], s[2:3] offset:64
	v_and_b32_e32 v0, 0xff, v11
	v_bfe_u32 v2, v11, 8, 8
	global_store_dwordx4 v4, v[0:3], s[0:1]
	s_nop 0
	v_lshrrev_b32_e32 v2, 24, v11
	v_bfe_u32 v0, v11, 16, 8
	global_store_dwordx4 v4, v[0:3], s[0:1] offset:16
	s_nop 0
	v_and_b32_e32 v0, 0xff, v12
	v_bfe_u32 v2, v12, 8, 8
	global_store_dwordx4 v4, v[0:3], s[0:1] offset:32
	s_nop 0
	v_lshrrev_b32_e32 v2, 24, v12
	v_bfe_u32 v0, v12, 16, 8
	global_store_dwordx4 v4, v[0:3], s[0:1] offset:48
	s_nop 0
	v_and_b32_e32 v0, 0xff, v13
	global_store_dwordx2 v4, v[0:1], s[0:1] offset:64
	s_endpgm
.LBB48_168:
	s_movk_i32 s24, 0xcccd
	v_mov_b32_e32 v8, 0xffffccce
	v_mad_legacy_u16 v8, v1, s24, v8
	v_lshlrev_b16_e32 v9, 15, v8
	v_lshrrev_b16_e32 v8, 1, v8
	v_or_b32_e32 v8, v8, v9
	s_movk_i32 s24, 0x199a
	v_cmp_gt_u16_e32 vcc, s24, v8
	s_orn2_b64 s[30:31], vcc, exec
	s_or_b64 exec, exec, s[48:49]
	s_and_saveexec_b64 s[24:25], s[18:19]
	s_cbranch_execz .LBB48_78
.LBB48_169:
	s_movk_i32 s18, 0xcccd
	v_mov_b32_e32 v8, 0xffff999b
	v_mad_legacy_u16 v8, v1, s18, v8
	v_lshlrev_b16_e32 v9, 15, v8
	v_lshrrev_b16_e32 v8, 1, v8
	v_or_b32_e32 v8, v8, v9
	s_movk_i32 s18, 0x199a
	v_cmp_gt_u16_e32 vcc, s18, v8
	s_orn2_b64 s[36:37], vcc, exec
	s_or_b64 exec, exec, s[24:25]
	s_mov_b64 s[18:19], -1
	s_and_saveexec_b64 s[24:25], s[12:13]
	s_cbranch_execnz .LBB48_79
	s_branch .LBB48_80
.LBB48_170:
	s_movk_i32 s26, 0xcccd
	v_mov_b32_e32 v2, 0xffffccce
	v_mad_legacy_u16 v2, v1, s26, v2
	v_lshlrev_b16_e32 v3, 15, v2
	v_lshrrev_b16_e32 v2, 1, v2
	v_or_b32_e32 v2, v2, v3
	s_movk_i32 s26, 0x199a
	v_cmp_gt_u16_e32 vcc, s26, v2
	s_orn2_b64 s[36:37], vcc, exec
	s_or_b64 exec, exec, s[46:47]
	s_and_saveexec_b64 s[26:27], s[20:21]
	s_cbranch_execz .LBB48_160
.LBB48_171:
	s_movk_i32 s20, 0xcccd
	v_mov_b32_e32 v2, 0xffff999b
	v_mad_legacy_u16 v2, v1, s20, v2
	v_lshlrev_b16_e32 v3, 15, v2
	v_lshrrev_b16_e32 v2, 1, v2
	v_or_b32_e32 v2, v2, v3
	s_movk_i32 s20, 0x199a
	v_cmp_gt_u16_e32 vcc, s20, v2
	s_orn2_b64 s[30:31], vcc, exec
	s_or_b64 exec, exec, s[26:27]
	s_mov_b64 s[20:21], -1
	s_and_saveexec_b64 s[26:27], s[14:15]
	s_cbranch_execnz .LBB48_161
	s_branch .LBB48_162
	.section	.rodata,"a",@progbits
	.p2align	6, 0x0
	.amdhsa_kernel _Z27flag_heads_and_tails_kernelIsb15custom_flag_op1IsELj234ELj9EEvPT_PxS4_
		.amdhsa_group_segment_fixed_size 936
		.amdhsa_private_segment_fixed_size 0
		.amdhsa_kernarg_size 24
		.amdhsa_user_sgpr_count 6
		.amdhsa_user_sgpr_private_segment_buffer 1
		.amdhsa_user_sgpr_dispatch_ptr 0
		.amdhsa_user_sgpr_queue_ptr 0
		.amdhsa_user_sgpr_kernarg_segment_ptr 1
		.amdhsa_user_sgpr_dispatch_id 0
		.amdhsa_user_sgpr_flat_scratch_init 0
		.amdhsa_user_sgpr_kernarg_preload_length 0
		.amdhsa_user_sgpr_kernarg_preload_offset 0
		.amdhsa_user_sgpr_private_segment_size 0
		.amdhsa_uses_dynamic_stack 0
		.amdhsa_system_sgpr_private_segment_wavefront_offset 0
		.amdhsa_system_sgpr_workgroup_id_x 1
		.amdhsa_system_sgpr_workgroup_id_y 0
		.amdhsa_system_sgpr_workgroup_id_z 0
		.amdhsa_system_sgpr_workgroup_info 0
		.amdhsa_system_vgpr_workitem_id 0
		.amdhsa_next_free_vgpr 24
		.amdhsa_next_free_sgpr 50
		.amdhsa_accum_offset 24
		.amdhsa_reserve_vcc 1
		.amdhsa_reserve_flat_scratch 0
		.amdhsa_float_round_mode_32 0
		.amdhsa_float_round_mode_16_64 0
		.amdhsa_float_denorm_mode_32 3
		.amdhsa_float_denorm_mode_16_64 3
		.amdhsa_dx10_clamp 1
		.amdhsa_ieee_mode 1
		.amdhsa_fp16_overflow 0
		.amdhsa_tg_split 0
		.amdhsa_exception_fp_ieee_invalid_op 0
		.amdhsa_exception_fp_denorm_src 0
		.amdhsa_exception_fp_ieee_div_zero 0
		.amdhsa_exception_fp_ieee_overflow 0
		.amdhsa_exception_fp_ieee_underflow 0
		.amdhsa_exception_fp_ieee_inexact 0
		.amdhsa_exception_int_div_zero 0
	.end_amdhsa_kernel
	.section	.text._Z27flag_heads_and_tails_kernelIsb15custom_flag_op1IsELj234ELj9EEvPT_PxS4_,"axG",@progbits,_Z27flag_heads_and_tails_kernelIsb15custom_flag_op1IsELj234ELj9EEvPT_PxS4_,comdat
.Lfunc_end48:
	.size	_Z27flag_heads_and_tails_kernelIsb15custom_flag_op1IsELj234ELj9EEvPT_PxS4_, .Lfunc_end48-_Z27flag_heads_and_tails_kernelIsb15custom_flag_op1IsELj234ELj9EEvPT_PxS4_
                                        ; -- End function
	.section	.AMDGPU.csdata,"",@progbits
; Kernel info:
; codeLenInByte = 6308
; NumSgprs: 54
; NumVgprs: 24
; NumAgprs: 0
; TotalNumVgprs: 24
; ScratchSize: 0
; MemoryBound: 0
; FloatMode: 240
; IeeeMode: 1
; LDSByteSize: 936 bytes/workgroup (compile time only)
; SGPRBlocks: 6
; VGPRBlocks: 2
; NumSGPRsForWavesPerEU: 54
; NumVGPRsForWavesPerEU: 24
; AccumOffset: 24
; Occupancy: 8
; WaveLimiterHint : 0
; COMPUTE_PGM_RSRC2:SCRATCH_EN: 0
; COMPUTE_PGM_RSRC2:USER_SGPR: 6
; COMPUTE_PGM_RSRC2:TRAP_HANDLER: 0
; COMPUTE_PGM_RSRC2:TGID_X_EN: 1
; COMPUTE_PGM_RSRC2:TGID_Y_EN: 0
; COMPUTE_PGM_RSRC2:TGID_Z_EN: 0
; COMPUTE_PGM_RSRC2:TIDIG_COMP_CNT: 0
; COMPUTE_PGM_RSRC3_GFX90A:ACCUM_OFFSET: 5
; COMPUTE_PGM_RSRC3_GFX90A:TG_SPLIT: 0
	.section	.text._Z27flag_heads_and_tails_kernelItiN10test_utils7greaterELj100ELj3EEvPT_PxS4_,"axG",@progbits,_Z27flag_heads_and_tails_kernelItiN10test_utils7greaterELj100ELj3EEvPT_PxS4_,comdat
	.protected	_Z27flag_heads_and_tails_kernelItiN10test_utils7greaterELj100ELj3EEvPT_PxS4_ ; -- Begin function _Z27flag_heads_and_tails_kernelItiN10test_utils7greaterELj100ELj3EEvPT_PxS4_
	.globl	_Z27flag_heads_and_tails_kernelItiN10test_utils7greaterELj100ELj3EEvPT_PxS4_
	.p2align	8
	.type	_Z27flag_heads_and_tails_kernelItiN10test_utils7greaterELj100ELj3EEvPT_PxS4_,@function
_Z27flag_heads_and_tails_kernelItiN10test_utils7greaterELj100ELj3EEvPT_PxS4_: ; @_Z27flag_heads_and_tails_kernelItiN10test_utils7greaterELj100ELj3EEvPT_PxS4_
; %bb.0:
	s_load_dwordx4 s[8:11], s[4:5], 0x0
	s_load_dwordx2 s[2:3], s[4:5], 0x10
	s_mul_i32 s4, s6, 0x12c
	s_mov_b32 s5, 0
	s_lshl_b64 s[0:1], s[4:5], 1
	s_waitcnt lgkmcnt(0)
	s_add_u32 s0, s8, s0
	v_mul_u32_u24_e32 v1, 3, v0
	s_addc_u32 s1, s9, s1
	v_lshlrev_b32_e32 v2, 1, v1
	global_load_ushort v3, v2, s[0:1] offset:4
	global_load_dword v5, v2, s[0:1]
	s_and_b32 s16, s6, 3
	s_cmp_lt_i32 s16, 2
	s_cbranch_scc1 .LBB49_8
; %bb.1:
	s_cmp_gt_i32 s16, 2
	s_cbranch_scc0 .LBB49_9
; %bb.2:
	v_lshlrev_b32_e32 v4, 1, v0
	s_waitcnt vmcnt(0)
	v_cmp_gt_u16_sdwa s[0:1], v3, v5 src0_sel:DWORD src1_sel:WORD_1
	v_cmp_gt_u16_sdwa s[6:7], v5, v5 src0_sel:WORD_1 src1_sel:DWORD
	v_cmp_ne_u32_e32 vcc, 0, v0
	v_mov_b32_e32 v8, 1
	v_mov_b32_e32 v2, 1
	ds_write_b16 v4, v3
	s_waitcnt lgkmcnt(0)
	s_barrier
	s_and_saveexec_b64 s[12:13], vcc
	s_cbranch_execz .LBB49_4
; %bb.3:
	v_add_u32_e32 v2, -2, v4
	ds_read_u16 v2, v2
	s_waitcnt lgkmcnt(0)
	v_cmp_gt_u16_e32 vcc, v5, v2
	v_cndmask_b32_e64 v2, 0, 1, vcc
.LBB49_4:
	s_or_b64 exec, exec, s[12:13]
	s_movk_i32 s12, 0x63
	v_cmp_ne_u32_e32 vcc, s12, v0
	ds_write_b16 v4, v5 offset:200
	s_waitcnt lgkmcnt(0)
	s_barrier
	s_and_saveexec_b64 s[12:13], vcc
	s_cbranch_execz .LBB49_6
; %bb.5:
	ds_read_u16 v4, v4 offset:202
	s_waitcnt lgkmcnt(0)
	v_cmp_gt_u16_e32 vcc, v4, v3
	v_cndmask_b32_e64 v8, 0, 1, vcc
.LBB49_6:
	s_or_b64 exec, exec, s[12:13]
	v_cndmask_b32_e64 v6, 0, 1, s[0:1]
	v_cndmask_b32_e64 v4, 0, 1, s[6:7]
.LBB49_7:
	s_cbranch_execz .LBB49_15
	s_branch .LBB49_27
.LBB49_8:
                                        ; implicit-def: $vgpr2
                                        ; implicit-def: $vgpr8
                                        ; implicit-def: $vgpr6
	s_branch .LBB49_15
.LBB49_9:
                                        ; implicit-def: $vgpr2
                                        ; implicit-def: $vgpr8
                                        ; implicit-def: $vgpr6
	s_cbranch_execz .LBB49_7
; %bb.10:
	s_add_i32 s0, s4, -1
	s_mov_b32 s1, 0
	s_lshl_b64 s[0:1], s[0:1], 1
	s_add_u32 s0, s8, s0
	s_addc_u32 s1, s9, s1
	v_mov_b32_e32 v2, 0
	global_load_ushort v4, v2, s[0:1]
	v_lshlrev_b32_e32 v2, 1, v0
	v_cmp_ne_u32_e32 vcc, 0, v0
	s_waitcnt vmcnt(2)
	ds_write_b16 v2, v3
	s_waitcnt lgkmcnt(0)
	s_barrier
	s_and_saveexec_b64 s[0:1], vcc
	s_cbranch_execz .LBB49_12
; %bb.11:
	s_waitcnt vmcnt(0)
	v_add_u32_e32 v4, -2, v2
	ds_read_u16 v4, v4
.LBB49_12:
	s_or_b64 exec, exec, s[0:1]
	s_movk_i32 s0, 0x63
	s_waitcnt vmcnt(1)
	v_cmp_gt_u16_sdwa s[6:7], v3, v5 src0_sel:DWORD src1_sel:WORD_1
	v_cmp_gt_u16_sdwa s[12:13], v5, v5 src0_sel:WORD_1 src1_sel:DWORD
	s_waitcnt vmcnt(0) lgkmcnt(0)
	v_cmp_gt_u16_e32 vcc, v5, v4
	v_cmp_ne_u32_e64 s[0:1], s0, v0
	v_mov_b32_e32 v8, 1
	ds_write_b16 v2, v5 offset:200
	s_waitcnt lgkmcnt(0)
	s_barrier
	s_and_saveexec_b64 s[14:15], s[0:1]
	s_cbranch_execz .LBB49_14
; %bb.13:
	ds_read_u16 v2, v2 offset:202
	s_waitcnt lgkmcnt(0)
	v_cmp_gt_u16_e64 s[0:1], v2, v3
	v_cndmask_b32_e64 v8, 0, 1, s[0:1]
.LBB49_14:
	s_or_b64 exec, exec, s[14:15]
	v_cndmask_b32_e64 v6, 0, 1, s[6:7]
	v_cndmask_b32_e64 v4, 0, 1, s[12:13]
	v_cndmask_b32_e64 v2, 0, 1, vcc
	s_cbranch_execnz .LBB49_27
.LBB49_15:
	s_cmp_eq_u32 s16, 1
	s_waitcnt vmcnt(0)
	v_cmp_gt_u16_sdwa s[0:1], v3, v5 src0_sel:DWORD src1_sel:WORD_1
	v_cmp_gt_u16_sdwa s[6:7], v5, v5 src0_sel:WORD_1 src1_sel:DWORD
	v_lshlrev_b32_e32 v7, 1, v0
	v_cmp_ne_u32_e32 vcc, 0, v0
	s_cbranch_scc1 .LBB49_21
; %bb.16:
	s_add_i32 s12, s4, 0x12c
	s_mov_b32 s13, 0
	s_lshl_b64 s[12:13], s[12:13], 1
	s_add_u32 s12, s8, s12
	s_addc_u32 s13, s9, s13
	v_mov_b32_e32 v2, 0
	global_load_ushort v8, v2, s[12:13]
	v_mov_b32_e32 v2, 1
	ds_write_b16 v7, v3
	s_waitcnt lgkmcnt(0)
	s_barrier
	s_and_saveexec_b64 s[12:13], vcc
	s_cbranch_execz .LBB49_18
; %bb.17:
	v_add_u32_e32 v2, -2, v7
	ds_read_u16 v2, v2
	s_waitcnt lgkmcnt(0)
	v_cmp_gt_u16_e32 vcc, v5, v2
	v_cndmask_b32_e64 v2, 0, 1, vcc
.LBB49_18:
	s_or_b64 exec, exec, s[12:13]
	s_movk_i32 s12, 0x63
	v_cmp_ne_u32_e32 vcc, s12, v0
	ds_write_b16 v7, v5 offset:200
	s_waitcnt lgkmcnt(0)
	s_barrier
	s_and_saveexec_b64 s[12:13], vcc
	s_cbranch_execz .LBB49_20
; %bb.19:
	s_waitcnt vmcnt(0)
	ds_read_u16 v8, v7 offset:202
.LBB49_20:
	s_or_b64 exec, exec, s[12:13]
	s_waitcnt vmcnt(0) lgkmcnt(0)
	v_cmp_gt_u16_e32 vcc, v8, v3
	v_cndmask_b32_e64 v6, 0, 1, s[0:1]
	v_cndmask_b32_e64 v4, 0, 1, s[6:7]
	v_cndmask_b32_e64 v8, 0, 1, vcc
	s_branch .LBB49_27
.LBB49_21:
                                        ; implicit-def: $vgpr2
                                        ; implicit-def: $vgpr8
                                        ; implicit-def: $vgpr6
	s_cbranch_execz .LBB49_27
; %bb.22:
	s_add_i32 s0, s4, -1
	s_mov_b32 s1, 0
	s_lshl_b64 s[6:7], s[0:1], 1
	s_add_u32 s6, s8, s6
	s_addc_u32 s7, s9, s7
	s_add_i32 s0, s4, 0x12c
	s_lshl_b64 s[0:1], s[0:1], 1
	v_mov_b32_e32 v4, 0
	s_add_u32 s0, s8, s0
	s_addc_u32 s1, s9, s1
	global_load_ushort v2, v4, s[6:7]
	global_load_ushort v8, v4, s[0:1]
	v_cmp_ne_u32_e32 vcc, 0, v0
	ds_write_b16 v7, v3
	s_waitcnt lgkmcnt(0)
	s_barrier
	s_and_saveexec_b64 s[0:1], vcc
	s_cbranch_execz .LBB49_24
; %bb.23:
	s_waitcnt vmcnt(1)
	v_add_u32_e32 v2, -2, v7
	ds_read_u16 v2, v2
.LBB49_24:
	s_or_b64 exec, exec, s[0:1]
	s_movk_i32 s0, 0x63
	v_cmp_ne_u32_e32 vcc, s0, v0
	ds_write_b16 v7, v5 offset:200
	s_waitcnt lgkmcnt(0)
	s_barrier
	s_and_saveexec_b64 s[0:1], vcc
	s_cbranch_execz .LBB49_26
; %bb.25:
	s_waitcnt vmcnt(0)
	ds_read_u16 v8, v7 offset:202
.LBB49_26:
	s_or_b64 exec, exec, s[0:1]
	v_cmp_gt_u16_sdwa s[0:1], v3, v5 src0_sel:DWORD src1_sel:WORD_1
	s_waitcnt vmcnt(1)
	v_cmp_gt_u16_e32 vcc, v5, v2
	v_cndmask_b32_e64 v6, 0, 1, s[0:1]
	v_cmp_gt_u16_sdwa s[0:1], v5, v5 src0_sel:WORD_1 src1_sel:DWORD
	v_cndmask_b32_e64 v2, 0, 1, vcc
	s_waitcnt vmcnt(0) lgkmcnt(0)
	v_cmp_gt_u16_e32 vcc, v8, v3
	v_cndmask_b32_e64 v4, 0, 1, s[0:1]
	v_cndmask_b32_e64 v8, 0, 1, vcc
.LBB49_27:
	s_lshl_b64 s[0:1], s[4:5], 3
	s_add_u32 s4, s10, s0
	s_addc_u32 s5, s11, s1
	s_add_u32 s0, s2, s0
	v_lshlrev_b32_e32 v0, 3, v1
	s_waitcnt vmcnt(1)
	v_ashrrev_i32_e32 v3, 31, v2
	s_waitcnt vmcnt(0)
	v_ashrrev_i32_e32 v5, 31, v4
	v_ashrrev_i32_e32 v7, 31, v6
	s_addc_u32 s1, s3, s1
	v_ashrrev_i32_e32 v9, 31, v8
	global_store_dwordx4 v0, v[2:5], s[4:5]
	global_store_dwordx2 v0, v[6:7], s[4:5] offset:16
	global_store_dwordx4 v0, v[4:7], s[0:1]
	global_store_dwordx2 v0, v[8:9], s[0:1] offset:16
	s_endpgm
	.section	.rodata,"a",@progbits
	.p2align	6, 0x0
	.amdhsa_kernel _Z27flag_heads_and_tails_kernelItiN10test_utils7greaterELj100ELj3EEvPT_PxS4_
		.amdhsa_group_segment_fixed_size 400
		.amdhsa_private_segment_fixed_size 0
		.amdhsa_kernarg_size 24
		.amdhsa_user_sgpr_count 6
		.amdhsa_user_sgpr_private_segment_buffer 1
		.amdhsa_user_sgpr_dispatch_ptr 0
		.amdhsa_user_sgpr_queue_ptr 0
		.amdhsa_user_sgpr_kernarg_segment_ptr 1
		.amdhsa_user_sgpr_dispatch_id 0
		.amdhsa_user_sgpr_flat_scratch_init 0
		.amdhsa_user_sgpr_kernarg_preload_length 0
		.amdhsa_user_sgpr_kernarg_preload_offset 0
		.amdhsa_user_sgpr_private_segment_size 0
		.amdhsa_uses_dynamic_stack 0
		.amdhsa_system_sgpr_private_segment_wavefront_offset 0
		.amdhsa_system_sgpr_workgroup_id_x 1
		.amdhsa_system_sgpr_workgroup_id_y 0
		.amdhsa_system_sgpr_workgroup_id_z 0
		.amdhsa_system_sgpr_workgroup_info 0
		.amdhsa_system_vgpr_workitem_id 0
		.amdhsa_next_free_vgpr 10
		.amdhsa_next_free_sgpr 17
		.amdhsa_accum_offset 12
		.amdhsa_reserve_vcc 1
		.amdhsa_reserve_flat_scratch 0
		.amdhsa_float_round_mode_32 0
		.amdhsa_float_round_mode_16_64 0
		.amdhsa_float_denorm_mode_32 3
		.amdhsa_float_denorm_mode_16_64 3
		.amdhsa_dx10_clamp 1
		.amdhsa_ieee_mode 1
		.amdhsa_fp16_overflow 0
		.amdhsa_tg_split 0
		.amdhsa_exception_fp_ieee_invalid_op 0
		.amdhsa_exception_fp_denorm_src 0
		.amdhsa_exception_fp_ieee_div_zero 0
		.amdhsa_exception_fp_ieee_overflow 0
		.amdhsa_exception_fp_ieee_underflow 0
		.amdhsa_exception_fp_ieee_inexact 0
		.amdhsa_exception_int_div_zero 0
	.end_amdhsa_kernel
	.section	.text._Z27flag_heads_and_tails_kernelItiN10test_utils7greaterELj100ELj3EEvPT_PxS4_,"axG",@progbits,_Z27flag_heads_and_tails_kernelItiN10test_utils7greaterELj100ELj3EEvPT_PxS4_,comdat
.Lfunc_end49:
	.size	_Z27flag_heads_and_tails_kernelItiN10test_utils7greaterELj100ELj3EEvPT_PxS4_, .Lfunc_end49-_Z27flag_heads_and_tails_kernelItiN10test_utils7greaterELj100ELj3EEvPT_PxS4_
                                        ; -- End function
	.section	.AMDGPU.csdata,"",@progbits
; Kernel info:
; codeLenInByte = 1012
; NumSgprs: 21
; NumVgprs: 10
; NumAgprs: 0
; TotalNumVgprs: 10
; ScratchSize: 0
; MemoryBound: 0
; FloatMode: 240
; IeeeMode: 1
; LDSByteSize: 400 bytes/workgroup (compile time only)
; SGPRBlocks: 2
; VGPRBlocks: 1
; NumSGPRsForWavesPerEU: 21
; NumVGPRsForWavesPerEU: 10
; AccumOffset: 12
; Occupancy: 8
; WaveLimiterHint : 0
; COMPUTE_PGM_RSRC2:SCRATCH_EN: 0
; COMPUTE_PGM_RSRC2:USER_SGPR: 6
; COMPUTE_PGM_RSRC2:TRAP_HANDLER: 0
; COMPUTE_PGM_RSRC2:TGID_X_EN: 1
; COMPUTE_PGM_RSRC2:TGID_Y_EN: 0
; COMPUTE_PGM_RSRC2:TGID_Z_EN: 0
; COMPUTE_PGM_RSRC2:TIDIG_COMP_CNT: 0
; COMPUTE_PGM_RSRC3_GFX90A:ACCUM_OFFSET: 2
; COMPUTE_PGM_RSRC3_GFX90A:TG_SPLIT: 0
	.section	.text._Z27flag_heads_and_tails_kernelI12hip_bfloat16iN10test_utils7greaterELj37ELj3EEvPT_PxS5_,"axG",@progbits,_Z27flag_heads_and_tails_kernelI12hip_bfloat16iN10test_utils7greaterELj37ELj3EEvPT_PxS5_,comdat
	.protected	_Z27flag_heads_and_tails_kernelI12hip_bfloat16iN10test_utils7greaterELj37ELj3EEvPT_PxS5_ ; -- Begin function _Z27flag_heads_and_tails_kernelI12hip_bfloat16iN10test_utils7greaterELj37ELj3EEvPT_PxS5_
	.globl	_Z27flag_heads_and_tails_kernelI12hip_bfloat16iN10test_utils7greaterELj37ELj3EEvPT_PxS5_
	.p2align	8
	.type	_Z27flag_heads_and_tails_kernelI12hip_bfloat16iN10test_utils7greaterELj37ELj3EEvPT_PxS5_,@function
_Z27flag_heads_and_tails_kernelI12hip_bfloat16iN10test_utils7greaterELj37ELj3EEvPT_PxS5_: ; @_Z27flag_heads_and_tails_kernelI12hip_bfloat16iN10test_utils7greaterELj37ELj3EEvPT_PxS5_
; %bb.0:
	s_load_dwordx4 s[8:11], s[4:5], 0x0
	s_load_dwordx2 s[2:3], s[4:5], 0x10
	s_mul_i32 s4, s6, 0x6f
	s_mov_b32 s5, 0
	s_lshl_b64 s[0:1], s[4:5], 1
	s_waitcnt lgkmcnt(0)
	s_add_u32 s0, s8, s0
	v_mul_u32_u24_e32 v3, 3, v0
	s_addc_u32 s1, s9, s1
	v_lshlrev_b32_e32 v1, 1, v3
	global_load_dword v4, v1, s[0:1]
	global_load_ushort v5, v1, s[0:1] offset:4
	s_and_b32 s12, s6, 3
	s_cmp_lt_i32 s12, 2
	s_cbranch_scc1 .LBB50_8
; %bb.1:
	s_cmp_gt_i32 s12, 2
	s_cbranch_scc0 .LBB50_9
; %bb.2:
	s_waitcnt vmcnt(0)
	v_lshlrev_b32_e32 v8, 16, v5
	v_and_b32_e32 v2, 0xffff0000, v4
	v_lshlrev_b32_e32 v9, 16, v4
	v_cmp_gt_f32_e32 vcc, v8, v2
	v_cndmask_b32_e64 v1, 0, 1, vcc
	v_cmp_gt_f32_e32 vcc, v2, v9
	v_lshlrev_b32_e32 v7, 1, v0
	v_cndmask_b32_e64 v6, 0, 1, vcc
	v_mov_b32_e32 v10, 1
	v_cmp_ne_u32_e32 vcc, 0, v0
	v_mov_b32_e32 v2, 1
	ds_write_b16 v7, v5
	s_waitcnt lgkmcnt(0)
	; wave barrier
	s_waitcnt lgkmcnt(0)
	s_and_saveexec_b64 s[0:1], vcc
	s_cbranch_execz .LBB50_4
; %bb.3:
	v_add_u32_e32 v2, -2, v7
	ds_read_u16 v2, v2
	s_waitcnt lgkmcnt(0)
	v_lshlrev_b32_e32 v2, 16, v2
	v_cmp_gt_f32_e32 vcc, v9, v2
	v_cndmask_b32_e64 v2, 0, 1, vcc
.LBB50_4:
	s_or_b64 exec, exec, s[0:1]
	v_cmp_ne_u32_e32 vcc, 36, v0
	ds_write_b16 v7, v4 offset:74
	s_waitcnt lgkmcnt(0)
	; wave barrier
	s_waitcnt lgkmcnt(0)
	s_and_saveexec_b64 s[0:1], vcc
	s_cbranch_execz .LBB50_6
; %bb.5:
	ds_read_u16 v7, v7 offset:76
	s_waitcnt lgkmcnt(0)
	v_lshlrev_b32_e32 v7, 16, v7
	v_cmp_lt_f32_e32 vcc, v8, v7
	v_cndmask_b32_e64 v10, 0, 1, vcc
.LBB50_6:
	s_or_b64 exec, exec, s[0:1]
.LBB50_7:
	s_cbranch_execz .LBB50_15
	s_branch .LBB50_27
.LBB50_8:
                                        ; implicit-def: $vgpr1
                                        ; implicit-def: $vgpr2
                                        ; implicit-def: $vgpr10
                                        ; implicit-def: $vgpr6_vgpr7_vgpr8
	s_branch .LBB50_15
.LBB50_9:
                                        ; implicit-def: $vgpr1
                                        ; implicit-def: $vgpr2
                                        ; implicit-def: $vgpr10
                                        ; implicit-def: $vgpr6_vgpr7_vgpr8
	s_cbranch_execz .LBB50_7
; %bb.10:
	s_add_i32 s0, s4, -1
	s_mov_b32 s1, 0
	s_lshl_b64 s[0:1], s[0:1], 1
	s_add_u32 s0, s8, s0
	s_addc_u32 s1, s9, s1
	v_mov_b32_e32 v1, 0
	global_load_ushort v8, v1, s[0:1]
	v_lshlrev_b32_e32 v2, 1, v0
	v_cmp_ne_u32_e32 vcc, 0, v0
	s_waitcnt vmcnt(1)
	ds_write_b16 v2, v5
	s_waitcnt lgkmcnt(0)
	; wave barrier
	s_waitcnt lgkmcnt(0)
	s_and_saveexec_b64 s[0:1], vcc
	s_cbranch_execz .LBB50_12
; %bb.11:
	v_add_u32_e32 v1, -2, v2
	s_waitcnt vmcnt(0)
	ds_read_u16 v8, v1
.LBB50_12:
	s_or_b64 exec, exec, s[0:1]
	v_lshlrev_b32_e32 v7, 16, v5
	v_and_b32_e32 v6, 0xffff0000, v4
	v_lshlrev_b32_e32 v9, 16, v4
	v_cmp_gt_f32_e32 vcc, v7, v6
	v_cndmask_b32_e64 v1, 0, 1, vcc
	v_cmp_gt_f32_e32 vcc, v6, v9
	s_waitcnt vmcnt(0) lgkmcnt(0)
	v_lshlrev_b32_e32 v8, 16, v8
	v_cndmask_b32_e64 v6, 0, 1, vcc
	v_cmp_gt_f32_e32 vcc, v9, v8
	v_mov_b32_e32 v10, 1
	v_cmp_ne_u32_e64 s[0:1], 36, v0
	ds_write_b16 v2, v4 offset:74
	s_waitcnt lgkmcnt(0)
	; wave barrier
	s_waitcnt lgkmcnt(0)
	s_and_saveexec_b64 s[6:7], s[0:1]
	s_cbranch_execz .LBB50_14
; %bb.13:
	ds_read_u16 v2, v2 offset:76
	s_waitcnt lgkmcnt(0)
	v_lshlrev_b32_e32 v2, 16, v2
	v_cmp_lt_f32_e64 s[0:1], v7, v2
	v_cndmask_b32_e64 v10, 0, 1, s[0:1]
.LBB50_14:
	s_or_b64 exec, exec, s[6:7]
	v_cndmask_b32_e64 v2, 0, 1, vcc
	s_cbranch_execnz .LBB50_27
.LBB50_15:
	s_cmp_eq_u32 s12, 1
	s_waitcnt vmcnt(0)
	v_lshlrev_b32_e32 v9, 16, v5
	v_lshlrev_b32_e32 v12, 1, v0
	;; [unrolled: 1-line block ×3, first 2 shown]
	v_cmp_ne_u32_e32 vcc, 0, v0
	s_cbranch_scc1 .LBB50_21
; %bb.16:
	s_add_i32 s0, s4, 0x6f
	s_mov_b32 s1, 0
	s_lshl_b64 s[0:1], s[0:1], 1
	s_add_u32 s0, s8, s0
	s_addc_u32 s1, s9, s1
	v_mov_b32_e32 v1, 0
	global_load_ushort v7, v1, s[0:1]
	v_and_b32_e32 v2, 0xffff0000, v4
	v_cmp_gt_f32_e64 s[0:1], v9, v2
	v_cndmask_b32_e64 v1, 0, 1, s[0:1]
	v_cmp_gt_f32_e64 s[0:1], v2, v11
	v_cndmask_b32_e64 v6, 0, 1, s[0:1]
	v_mov_b32_e32 v2, 1
	ds_write_b16 v12, v5
	s_waitcnt lgkmcnt(0)
	; wave barrier
	s_waitcnt lgkmcnt(0)
	s_and_saveexec_b64 s[0:1], vcc
	s_cbranch_execz .LBB50_18
; %bb.17:
	v_add_u32_e32 v2, -2, v12
	ds_read_u16 v2, v2
	s_waitcnt lgkmcnt(0)
	v_lshlrev_b32_e32 v2, 16, v2
	v_cmp_gt_f32_e32 vcc, v11, v2
	v_cndmask_b32_e64 v2, 0, 1, vcc
.LBB50_18:
	s_or_b64 exec, exec, s[0:1]
	v_cmp_ne_u32_e32 vcc, 36, v0
	ds_write_b16 v12, v4 offset:74
	s_waitcnt lgkmcnt(0)
	; wave barrier
	s_waitcnt lgkmcnt(0)
	s_and_saveexec_b64 s[0:1], vcc
	s_cbranch_execz .LBB50_20
; %bb.19:
	s_waitcnt vmcnt(0)
	ds_read_u16 v7, v12 offset:76
.LBB50_20:
	s_or_b64 exec, exec, s[0:1]
	s_waitcnt vmcnt(0) lgkmcnt(0)
	v_lshlrev_b32_e32 v7, 16, v7
	v_cmp_lt_f32_e32 vcc, v9, v7
	v_cndmask_b32_e64 v10, 0, 1, vcc
	s_branch .LBB50_27
.LBB50_21:
                                        ; implicit-def: $vgpr1
                                        ; implicit-def: $vgpr2
                                        ; implicit-def: $vgpr10
                                        ; implicit-def: $vgpr6_vgpr7_vgpr8
	s_cbranch_execz .LBB50_27
; %bb.22:
	s_add_i32 s0, s4, -1
	s_mov_b32 s1, 0
	s_lshl_b64 s[6:7], s[0:1], 1
	s_add_u32 s6, s8, s6
	s_addc_u32 s7, s9, s7
	s_add_i32 s0, s4, 0x6f
	s_lshl_b64 s[0:1], s[0:1], 1
	v_mov_b32_e32 v1, 0
	s_add_u32 s0, s8, s0
	s_addc_u32 s1, s9, s1
	global_load_ushort v2, v1, s[6:7]
	global_load_ushort v7, v1, s[0:1]
	v_cmp_ne_u32_e32 vcc, 0, v0
	ds_write_b16 v12, v5
	s_waitcnt lgkmcnt(0)
	; wave barrier
	s_waitcnt lgkmcnt(0)
	s_and_saveexec_b64 s[0:1], vcc
	s_cbranch_execz .LBB50_24
; %bb.23:
	v_add_u32_e32 v1, -2, v12
	s_waitcnt vmcnt(1)
	ds_read_u16 v2, v1
.LBB50_24:
	s_or_b64 exec, exec, s[0:1]
	v_cmp_ne_u32_e32 vcc, 36, v0
	ds_write_b16 v12, v4 offset:74
	s_waitcnt lgkmcnt(0)
	; wave barrier
	s_waitcnt lgkmcnt(0)
	s_and_saveexec_b64 s[0:1], vcc
	s_cbranch_execz .LBB50_26
; %bb.25:
	s_waitcnt vmcnt(0)
	ds_read_u16 v7, v12 offset:76
.LBB50_26:
	s_or_b64 exec, exec, s[0:1]
	v_and_b32_e32 v0, 0xffff0000, v4
	v_cmp_gt_f32_e32 vcc, v0, v11
	v_cndmask_b32_e64 v6, 0, 1, vcc
	v_cmp_gt_f32_e32 vcc, v9, v0
	s_waitcnt vmcnt(1)
	v_lshlrev_b32_e32 v0, 16, v2
	v_cndmask_b32_e64 v1, 0, 1, vcc
	v_cmp_gt_f32_e32 vcc, v11, v0
	s_waitcnt vmcnt(0) lgkmcnt(0)
	v_lshlrev_b32_e32 v0, 16, v7
	v_cndmask_b32_e64 v2, 0, 1, vcc
	v_cmp_lt_f32_e32 vcc, v9, v0
	v_cndmask_b32_e64 v10, 0, 1, vcc
.LBB50_27:
	s_lshl_b64 s[0:1], s[4:5], 3
	s_add_u32 s4, s10, s0
	s_addc_u32 s5, s11, s1
	v_lshlrev_b32_e32 v0, 3, v3
	v_ashrrev_i32_e32 v3, 31, v2
	s_waitcnt vmcnt(0)
	v_ashrrev_i32_e32 v5, 31, v6
	v_mov_b32_e32 v4, v6
	global_store_dwordx4 v0, v[2:5], s[4:5]
	s_add_u32 s0, s2, s0
	v_ashrrev_i32_e32 v3, 31, v1
	v_mov_b32_e32 v2, v1
	global_store_dwordx2 v0, v[2:3], s[4:5] offset:16
	s_addc_u32 s1, s3, s1
	v_ashrrev_i32_e32 v3, 31, v6
	v_ashrrev_i32_e32 v5, 31, v1
	v_mov_b32_e32 v2, v6
	v_mov_b32_e32 v4, v1
	v_ashrrev_i32_e32 v11, 31, v10
	global_store_dwordx4 v0, v[2:5], s[0:1]
	global_store_dwordx2 v0, v[10:11], s[0:1] offset:16
	s_endpgm
	.section	.rodata,"a",@progbits
	.p2align	6, 0x0
	.amdhsa_kernel _Z27flag_heads_and_tails_kernelI12hip_bfloat16iN10test_utils7greaterELj37ELj3EEvPT_PxS5_
		.amdhsa_group_segment_fixed_size 148
		.amdhsa_private_segment_fixed_size 0
		.amdhsa_kernarg_size 24
		.amdhsa_user_sgpr_count 6
		.amdhsa_user_sgpr_private_segment_buffer 1
		.amdhsa_user_sgpr_dispatch_ptr 0
		.amdhsa_user_sgpr_queue_ptr 0
		.amdhsa_user_sgpr_kernarg_segment_ptr 1
		.amdhsa_user_sgpr_dispatch_id 0
		.amdhsa_user_sgpr_flat_scratch_init 0
		.amdhsa_user_sgpr_kernarg_preload_length 0
		.amdhsa_user_sgpr_kernarg_preload_offset 0
		.amdhsa_user_sgpr_private_segment_size 0
		.amdhsa_uses_dynamic_stack 0
		.amdhsa_system_sgpr_private_segment_wavefront_offset 0
		.amdhsa_system_sgpr_workgroup_id_x 1
		.amdhsa_system_sgpr_workgroup_id_y 0
		.amdhsa_system_sgpr_workgroup_id_z 0
		.amdhsa_system_sgpr_workgroup_info 0
		.amdhsa_system_vgpr_workitem_id 0
		.amdhsa_next_free_vgpr 13
		.amdhsa_next_free_sgpr 13
		.amdhsa_accum_offset 16
		.amdhsa_reserve_vcc 1
		.amdhsa_reserve_flat_scratch 0
		.amdhsa_float_round_mode_32 0
		.amdhsa_float_round_mode_16_64 0
		.amdhsa_float_denorm_mode_32 3
		.amdhsa_float_denorm_mode_16_64 3
		.amdhsa_dx10_clamp 1
		.amdhsa_ieee_mode 1
		.amdhsa_fp16_overflow 0
		.amdhsa_tg_split 0
		.amdhsa_exception_fp_ieee_invalid_op 0
		.amdhsa_exception_fp_denorm_src 0
		.amdhsa_exception_fp_ieee_div_zero 0
		.amdhsa_exception_fp_ieee_overflow 0
		.amdhsa_exception_fp_ieee_underflow 0
		.amdhsa_exception_fp_ieee_inexact 0
		.amdhsa_exception_int_div_zero 0
	.end_amdhsa_kernel
	.section	.text._Z27flag_heads_and_tails_kernelI12hip_bfloat16iN10test_utils7greaterELj37ELj3EEvPT_PxS5_,"axG",@progbits,_Z27flag_heads_and_tails_kernelI12hip_bfloat16iN10test_utils7greaterELj37ELj3EEvPT_PxS5_,comdat
.Lfunc_end50:
	.size	_Z27flag_heads_and_tails_kernelI12hip_bfloat16iN10test_utils7greaterELj37ELj3EEvPT_PxS5_, .Lfunc_end50-_Z27flag_heads_and_tails_kernelI12hip_bfloat16iN10test_utils7greaterELj37ELj3EEvPT_PxS5_
                                        ; -- End function
	.section	.AMDGPU.csdata,"",@progbits
; Kernel info:
; codeLenInByte = 1076
; NumSgprs: 17
; NumVgprs: 13
; NumAgprs: 0
; TotalNumVgprs: 13
; ScratchSize: 0
; MemoryBound: 0
; FloatMode: 240
; IeeeMode: 1
; LDSByteSize: 148 bytes/workgroup (compile time only)
; SGPRBlocks: 2
; VGPRBlocks: 1
; NumSGPRsForWavesPerEU: 17
; NumVGPRsForWavesPerEU: 13
; AccumOffset: 16
; Occupancy: 8
; WaveLimiterHint : 0
; COMPUTE_PGM_RSRC2:SCRATCH_EN: 0
; COMPUTE_PGM_RSRC2:USER_SGPR: 6
; COMPUTE_PGM_RSRC2:TRAP_HANDLER: 0
; COMPUTE_PGM_RSRC2:TGID_X_EN: 1
; COMPUTE_PGM_RSRC2:TGID_Y_EN: 0
; COMPUTE_PGM_RSRC2:TGID_Z_EN: 0
; COMPUTE_PGM_RSRC2:TIDIG_COMP_CNT: 0
; COMPUTE_PGM_RSRC3_GFX90A:ACCUM_OFFSET: 3
; COMPUTE_PGM_RSRC3_GFX90A:TG_SPLIT: 0
	.section	.text._Z27flag_heads_and_tails_kernelI6__halfiN10test_utils7greaterELj37ELj5EEvPT_PxS5_,"axG",@progbits,_Z27flag_heads_and_tails_kernelI6__halfiN10test_utils7greaterELj37ELj5EEvPT_PxS5_,comdat
	.protected	_Z27flag_heads_and_tails_kernelI6__halfiN10test_utils7greaterELj37ELj5EEvPT_PxS5_ ; -- Begin function _Z27flag_heads_and_tails_kernelI6__halfiN10test_utils7greaterELj37ELj5EEvPT_PxS5_
	.globl	_Z27flag_heads_and_tails_kernelI6__halfiN10test_utils7greaterELj37ELj5EEvPT_PxS5_
	.p2align	8
	.type	_Z27flag_heads_and_tails_kernelI6__halfiN10test_utils7greaterELj37ELj5EEvPT_PxS5_,@function
_Z27flag_heads_and_tails_kernelI6__halfiN10test_utils7greaterELj37ELj5EEvPT_PxS5_: ; @_Z27flag_heads_and_tails_kernelI6__halfiN10test_utils7greaterELj37ELj5EEvPT_PxS5_
; %bb.0:
	s_load_dwordx4 s[8:11], s[4:5], 0x0
	s_load_dwordx2 s[2:3], s[4:5], 0x10
	s_mul_i32 s4, s6, 0xb9
	s_mov_b32 s5, 0
	s_lshl_b64 s[0:1], s[4:5], 1
	s_waitcnt lgkmcnt(0)
	s_add_u32 s0, s8, s0
	v_mul_u32_u24_e32 v1, 5, v0
	s_addc_u32 s1, s9, s1
	v_lshlrev_b32_e32 v2, 1, v1
	global_load_ushort v3, v2, s[0:1] offset:8
	global_load_dwordx2 v[12:13], v2, s[0:1]
	s_and_b32 s20, s6, 3
	s_cmp_lt_i32 s20, 2
	s_cbranch_scc1 .LBB51_8
; %bb.1:
	s_cmp_gt_i32 s20, 2
	s_cbranch_scc0 .LBB51_9
; %bb.2:
	v_lshlrev_b32_e32 v4, 1, v0
	s_waitcnt vmcnt(0)
	v_cmp_lt_f16_sdwa s[0:1], v13, v3 src0_sel:WORD_1 src1_sel:DWORD
	v_cmp_gt_f16_sdwa s[6:7], v13, v13 src0_sel:WORD_1 src1_sel:DWORD
	v_cmp_gt_f16_sdwa s[12:13], v13, v12 src0_sel:DWORD src1_sel:WORD_1
	v_cmp_gt_f16_sdwa s[14:15], v12, v12 src0_sel:WORD_1 src1_sel:DWORD
	v_cmp_ne_u32_e32 vcc, 0, v0
	v_mov_b32_e32 v14, 1
	v_mov_b32_e32 v2, 1
	ds_write_b16 v4, v3
	s_waitcnt lgkmcnt(0)
	; wave barrier
	s_waitcnt lgkmcnt(0)
	s_and_saveexec_b64 s[16:17], vcc
	s_cbranch_execz .LBB51_4
; %bb.3:
	v_add_u32_e32 v2, -2, v4
	ds_read_u16 v2, v2
	s_waitcnt lgkmcnt(0)
	v_cmp_lt_f16_e32 vcc, v2, v12
	v_cndmask_b32_e64 v2, 0, 1, vcc
.LBB51_4:
	s_or_b64 exec, exec, s[16:17]
	v_cmp_ne_u32_e32 vcc, 36, v0
	ds_write_b16 v4, v12 offset:74
	s_waitcnt lgkmcnt(0)
	; wave barrier
	s_waitcnt lgkmcnt(0)
	s_and_saveexec_b64 s[16:17], vcc
	s_cbranch_execz .LBB51_6
; %bb.5:
	ds_read_u16 v4, v4 offset:76
	s_waitcnt lgkmcnt(0)
	v_cmp_gt_f16_e32 vcc, v4, v3
	v_cndmask_b32_e64 v14, 0, 1, vcc
.LBB51_6:
	s_or_b64 exec, exec, s[16:17]
	v_cndmask_b32_e64 v6, 0, 1, s[0:1]
	v_cndmask_b32_e64 v10, 0, 1, s[6:7]
	;; [unrolled: 1-line block ×4, first 2 shown]
.LBB51_7:
	s_cbranch_execz .LBB51_15
	s_branch .LBB51_27
.LBB51_8:
                                        ; implicit-def: $vgpr2
                                        ; implicit-def: $vgpr14
                                        ; implicit-def: $vgpr6
                                        ; implicit-def: $vgpr10
	s_branch .LBB51_15
.LBB51_9:
                                        ; implicit-def: $vgpr2
                                        ; implicit-def: $vgpr14
                                        ; implicit-def: $vgpr6
                                        ; implicit-def: $vgpr10
	s_cbranch_execz .LBB51_7
; %bb.10:
	s_add_i32 s0, s4, -1
	s_mov_b32 s1, 0
	s_lshl_b64 s[0:1], s[0:1], 1
	s_add_u32 s0, s8, s0
	s_addc_u32 s1, s9, s1
	v_mov_b32_e32 v2, 0
	global_load_ushort v4, v2, s[0:1]
	v_lshlrev_b32_e32 v2, 1, v0
	v_cmp_ne_u32_e32 vcc, 0, v0
	s_waitcnt vmcnt(2)
	ds_write_b16 v2, v3
	s_waitcnt lgkmcnt(0)
	; wave barrier
	s_waitcnt lgkmcnt(0)
	s_and_saveexec_b64 s[0:1], vcc
	s_cbranch_execz .LBB51_12
; %bb.11:
	s_waitcnt vmcnt(0)
	v_add_u32_e32 v4, -2, v2
	ds_read_u16 v4, v4
.LBB51_12:
	s_or_b64 exec, exec, s[0:1]
	s_waitcnt vmcnt(1)
	v_cmp_lt_f16_sdwa s[6:7], v13, v3 src0_sel:WORD_1 src1_sel:DWORD
	v_cmp_gt_f16_sdwa s[12:13], v13, v13 src0_sel:WORD_1 src1_sel:DWORD
	v_cmp_gt_f16_sdwa s[14:15], v13, v12 src0_sel:DWORD src1_sel:WORD_1
	v_cmp_gt_f16_sdwa s[16:17], v12, v12 src0_sel:WORD_1 src1_sel:DWORD
	s_waitcnt vmcnt(0) lgkmcnt(0)
	v_cmp_lt_f16_e32 vcc, v4, v12
	v_cmp_ne_u32_e64 s[0:1], 36, v0
	v_mov_b32_e32 v14, 1
	ds_write_b16 v2, v12 offset:74
	s_waitcnt lgkmcnt(0)
	; wave barrier
	s_waitcnt lgkmcnt(0)
	s_and_saveexec_b64 s[18:19], s[0:1]
	s_cbranch_execz .LBB51_14
; %bb.13:
	ds_read_u16 v2, v2 offset:76
	s_waitcnt lgkmcnt(0)
	v_cmp_gt_f16_e64 s[0:1], v2, v3
	v_cndmask_b32_e64 v14, 0, 1, s[0:1]
.LBB51_14:
	s_or_b64 exec, exec, s[18:19]
	v_cndmask_b32_e64 v6, 0, 1, s[6:7]
	v_cndmask_b32_e64 v10, 0, 1, s[12:13]
	;; [unrolled: 1-line block ×4, first 2 shown]
	v_cndmask_b32_e64 v2, 0, 1, vcc
	s_cbranch_execnz .LBB51_27
.LBB51_15:
	s_cmp_eq_u32 s20, 1
	s_waitcnt vmcnt(0)
	v_cmp_lt_f16_sdwa s[0:1], v13, v3 src0_sel:WORD_1 src1_sel:DWORD
	v_cmp_gt_f16_sdwa s[6:7], v13, v13 src0_sel:WORD_1 src1_sel:DWORD
	v_cmp_gt_f16_sdwa s[12:13], v13, v12 src0_sel:DWORD src1_sel:WORD_1
	v_cmp_gt_f16_sdwa s[14:15], v12, v12 src0_sel:WORD_1 src1_sel:DWORD
	v_lshlrev_b32_e32 v5, 1, v0
	v_cmp_ne_u32_e32 vcc, 0, v0
	s_cbranch_scc1 .LBB51_21
; %bb.16:
	s_add_i32 s16, s4, 0xb9
	s_mov_b32 s17, 0
	s_lshl_b64 s[16:17], s[16:17], 1
	s_add_u32 s16, s8, s16
	s_addc_u32 s17, s9, s17
	v_mov_b32_e32 v2, 0
	global_load_ushort v7, v2, s[16:17]
	v_mov_b32_e32 v2, 1
	ds_write_b16 v5, v3
	s_waitcnt lgkmcnt(0)
	; wave barrier
	s_waitcnt lgkmcnt(0)
	s_and_saveexec_b64 s[16:17], vcc
	s_cbranch_execz .LBB51_18
; %bb.17:
	v_add_u32_e32 v2, -2, v5
	ds_read_u16 v2, v2
	s_waitcnt lgkmcnt(0)
	v_cmp_lt_f16_e32 vcc, v2, v12
	v_cndmask_b32_e64 v2, 0, 1, vcc
.LBB51_18:
	s_or_b64 exec, exec, s[16:17]
	v_cmp_ne_u32_e32 vcc, 36, v0
	ds_write_b16 v5, v12 offset:74
	s_waitcnt lgkmcnt(0)
	; wave barrier
	s_waitcnt lgkmcnt(0)
	s_and_saveexec_b64 s[16:17], vcc
	s_cbranch_execz .LBB51_20
; %bb.19:
	s_waitcnt vmcnt(0)
	ds_read_u16 v7, v5 offset:76
.LBB51_20:
	s_or_b64 exec, exec, s[16:17]
	s_waitcnt vmcnt(0) lgkmcnt(0)
	v_cmp_gt_f16_e32 vcc, v7, v3
	v_cndmask_b32_e64 v6, 0, 1, s[0:1]
	v_cndmask_b32_e64 v10, 0, 1, s[6:7]
	;; [unrolled: 1-line block ×4, first 2 shown]
	v_cndmask_b32_e64 v14, 0, 1, vcc
	s_branch .LBB51_27
.LBB51_21:
                                        ; implicit-def: $vgpr2
                                        ; implicit-def: $vgpr14
                                        ; implicit-def: $vgpr6
                                        ; implicit-def: $vgpr10
	s_cbranch_execz .LBB51_27
; %bb.22:
	s_add_i32 s0, s4, -1
	s_mov_b32 s1, 0
	s_lshl_b64 s[6:7], s[0:1], 1
	s_add_u32 s6, s8, s6
	s_addc_u32 s7, s9, s7
	s_add_i32 s0, s4, 0xb9
	s_lshl_b64 s[0:1], s[0:1], 1
	v_mov_b32_e32 v4, 0
	s_add_u32 s0, s8, s0
	s_addc_u32 s1, s9, s1
	global_load_ushort v2, v4, s[6:7]
	global_load_ushort v7, v4, s[0:1]
	v_cmp_ne_u32_e32 vcc, 0, v0
	ds_write_b16 v5, v3
	s_waitcnt lgkmcnt(0)
	; wave barrier
	s_waitcnt lgkmcnt(0)
	s_and_saveexec_b64 s[0:1], vcc
	s_cbranch_execz .LBB51_24
; %bb.23:
	s_waitcnt vmcnt(1)
	v_add_u32_e32 v2, -2, v5
	ds_read_u16 v2, v2
.LBB51_24:
	s_or_b64 exec, exec, s[0:1]
	v_cmp_ne_u32_e32 vcc, 36, v0
	ds_write_b16 v5, v12 offset:74
	s_waitcnt lgkmcnt(0)
	; wave barrier
	s_waitcnt lgkmcnt(0)
	s_and_saveexec_b64 s[0:1], vcc
	s_cbranch_execz .LBB51_26
; %bb.25:
	s_waitcnt vmcnt(0)
	ds_read_u16 v7, v5 offset:76
.LBB51_26:
	s_or_b64 exec, exec, s[0:1]
	v_cmp_lt_f16_sdwa s[0:1], v13, v3 src0_sel:WORD_1 src1_sel:DWORD
	v_cndmask_b32_e64 v6, 0, 1, s[0:1]
	v_cmp_gt_f16_sdwa s[0:1], v13, v13 src0_sel:WORD_1 src1_sel:DWORD
	v_cndmask_b32_e64 v10, 0, 1, s[0:1]
	v_cmp_gt_f16_sdwa s[0:1], v13, v12 src0_sel:DWORD src1_sel:WORD_1
	s_waitcnt vmcnt(1)
	v_cmp_lt_f16_e32 vcc, v2, v12
	v_cndmask_b32_e64 v8, 0, 1, s[0:1]
	v_cmp_gt_f16_sdwa s[0:1], v12, v12 src0_sel:WORD_1 src1_sel:DWORD
	v_cndmask_b32_e64 v2, 0, 1, vcc
	s_waitcnt vmcnt(0) lgkmcnt(0)
	v_cmp_gt_f16_e32 vcc, v7, v3
	v_cndmask_b32_e64 v4, 0, 1, s[0:1]
	v_cndmask_b32_e64 v14, 0, 1, vcc
.LBB51_27:
	s_lshl_b64 s[0:1], s[4:5], 3
	s_add_u32 s4, s10, s0
	s_addc_u32 s5, s11, s1
	s_waitcnt vmcnt(0)
	v_lshlrev_b32_e32 v12, 3, v1
	v_ashrrev_i32_e32 v3, 31, v2
	v_ashrrev_i32_e32 v5, 31, v4
	;; [unrolled: 1-line block ×4, first 2 shown]
	s_add_u32 s0, s2, s0
	global_store_dwordx4 v12, v[2:5], s[4:5]
	v_ashrrev_i32_e32 v7, 31, v6
	s_addc_u32 s1, s3, s1
	v_mov_b32_e32 v0, v4
	v_mov_b32_e32 v1, v5
	v_mov_b32_e32 v2, v8
	v_mov_b32_e32 v3, v9
	v_mov_b32_e32 v4, v10
	v_mov_b32_e32 v5, v11
	v_ashrrev_i32_e32 v15, 31, v14
	global_store_dwordx4 v12, v[8:11], s[4:5] offset:16
	global_store_dwordx2 v12, v[6:7], s[4:5] offset:32
	global_store_dwordx4 v12, v[0:3], s[0:1]
	global_store_dwordx4 v12, v[4:7], s[0:1] offset:16
	global_store_dwordx2 v12, v[14:15], s[0:1] offset:32
	s_endpgm
	.section	.rodata,"a",@progbits
	.p2align	6, 0x0
	.amdhsa_kernel _Z27flag_heads_and_tails_kernelI6__halfiN10test_utils7greaterELj37ELj5EEvPT_PxS5_
		.amdhsa_group_segment_fixed_size 148
		.amdhsa_private_segment_fixed_size 0
		.amdhsa_kernarg_size 24
		.amdhsa_user_sgpr_count 6
		.amdhsa_user_sgpr_private_segment_buffer 1
		.amdhsa_user_sgpr_dispatch_ptr 0
		.amdhsa_user_sgpr_queue_ptr 0
		.amdhsa_user_sgpr_kernarg_segment_ptr 1
		.amdhsa_user_sgpr_dispatch_id 0
		.amdhsa_user_sgpr_flat_scratch_init 0
		.amdhsa_user_sgpr_kernarg_preload_length 0
		.amdhsa_user_sgpr_kernarg_preload_offset 0
		.amdhsa_user_sgpr_private_segment_size 0
		.amdhsa_uses_dynamic_stack 0
		.amdhsa_system_sgpr_private_segment_wavefront_offset 0
		.amdhsa_system_sgpr_workgroup_id_x 1
		.amdhsa_system_sgpr_workgroup_id_y 0
		.amdhsa_system_sgpr_workgroup_id_z 0
		.amdhsa_system_sgpr_workgroup_info 0
		.amdhsa_system_vgpr_workitem_id 0
		.amdhsa_next_free_vgpr 16
		.amdhsa_next_free_sgpr 21
		.amdhsa_accum_offset 16
		.amdhsa_reserve_vcc 1
		.amdhsa_reserve_flat_scratch 0
		.amdhsa_float_round_mode_32 0
		.amdhsa_float_round_mode_16_64 0
		.amdhsa_float_denorm_mode_32 3
		.amdhsa_float_denorm_mode_16_64 3
		.amdhsa_dx10_clamp 1
		.amdhsa_ieee_mode 1
		.amdhsa_fp16_overflow 0
		.amdhsa_tg_split 0
		.amdhsa_exception_fp_ieee_invalid_op 0
		.amdhsa_exception_fp_denorm_src 0
		.amdhsa_exception_fp_ieee_div_zero 0
		.amdhsa_exception_fp_ieee_overflow 0
		.amdhsa_exception_fp_ieee_underflow 0
		.amdhsa_exception_fp_ieee_inexact 0
		.amdhsa_exception_int_div_zero 0
	.end_amdhsa_kernel
	.section	.text._Z27flag_heads_and_tails_kernelI6__halfiN10test_utils7greaterELj37ELj5EEvPT_PxS5_,"axG",@progbits,_Z27flag_heads_and_tails_kernelI6__halfiN10test_utils7greaterELj37ELj5EEvPT_PxS5_,comdat
.Lfunc_end51:
	.size	_Z27flag_heads_and_tails_kernelI6__halfiN10test_utils7greaterELj37ELj5EEvPT_PxS5_, .Lfunc_end51-_Z27flag_heads_and_tails_kernelI6__halfiN10test_utils7greaterELj37ELj5EEvPT_PxS5_
                                        ; -- End function
	.section	.AMDGPU.csdata,"",@progbits
; Kernel info:
; codeLenInByte = 1168
; NumSgprs: 25
; NumVgprs: 16
; NumAgprs: 0
; TotalNumVgprs: 16
; ScratchSize: 0
; MemoryBound: 0
; FloatMode: 240
; IeeeMode: 1
; LDSByteSize: 148 bytes/workgroup (compile time only)
; SGPRBlocks: 3
; VGPRBlocks: 1
; NumSGPRsForWavesPerEU: 25
; NumVGPRsForWavesPerEU: 16
; AccumOffset: 16
; Occupancy: 8
; WaveLimiterHint : 0
; COMPUTE_PGM_RSRC2:SCRATCH_EN: 0
; COMPUTE_PGM_RSRC2:USER_SGPR: 6
; COMPUTE_PGM_RSRC2:TRAP_HANDLER: 0
; COMPUTE_PGM_RSRC2:TGID_X_EN: 1
; COMPUTE_PGM_RSRC2:TGID_Y_EN: 0
; COMPUTE_PGM_RSRC2:TGID_Z_EN: 0
; COMPUTE_PGM_RSRC2:TIDIG_COMP_CNT: 0
; COMPUTE_PGM_RSRC3_GFX90A:ACCUM_OFFSET: 3
; COMPUTE_PGM_RSRC3_GFX90A:TG_SPLIT: 0
	.section	.text._Z27flag_heads_and_tails_kernelIdjN6hipcub8EqualityELj464ELj2EEvPT_PxS4_,"axG",@progbits,_Z27flag_heads_and_tails_kernelIdjN6hipcub8EqualityELj464ELj2EEvPT_PxS4_,comdat
	.protected	_Z27flag_heads_and_tails_kernelIdjN6hipcub8EqualityELj464ELj2EEvPT_PxS4_ ; -- Begin function _Z27flag_heads_and_tails_kernelIdjN6hipcub8EqualityELj464ELj2EEvPT_PxS4_
	.globl	_Z27flag_heads_and_tails_kernelIdjN6hipcub8EqualityELj464ELj2EEvPT_PxS4_
	.p2align	8
	.type	_Z27flag_heads_and_tails_kernelIdjN6hipcub8EqualityELj464ELj2EEvPT_PxS4_,@function
_Z27flag_heads_and_tails_kernelIdjN6hipcub8EqualityELj464ELj2EEvPT_PxS4_: ; @_Z27flag_heads_and_tails_kernelIdjN6hipcub8EqualityELj464ELj2EEvPT_PxS4_
; %bb.0:
	s_load_dwordx4 s[8:11], s[4:5], 0x0
	s_load_dwordx2 s[12:13], s[4:5], 0x10
	s_mul_i32 s14, s6, 0x3a0
	s_mov_b32 s15, 0
	s_lshl_b64 s[4:5], s[14:15], 3
	s_waitcnt lgkmcnt(0)
	s_add_u32 s0, s8, s4
	s_addc_u32 s1, s9, s5
	v_lshlrev_b32_e32 v1, 4, v0
	global_load_dwordx4 v[2:5], v1, s[0:1]
	s_and_b32 s15, s6, 3
	s_cmp_lt_i32 s15, 2
	v_lshlrev_b32_e32 v9, 1, v0
	s_cbranch_scc1 .LBB52_8
; %bb.1:
	s_cmp_gt_i32 s15, 2
	s_cbranch_scc0 .LBB52_9
; %bb.2:
	v_lshlrev_b32_e32 v7, 3, v0
	s_waitcnt vmcnt(0)
	v_cmp_eq_f64_e32 vcc, v[4:5], v[2:3]
	v_cmp_ne_u32_e64 s[0:1], 0, v0
	v_mov_b32_e32 v1, 1
	v_mov_b32_e32 v6, 1
	ds_write_b64 v7, v[4:5]
	s_waitcnt lgkmcnt(0)
	s_barrier
	s_and_saveexec_b64 s[2:3], s[0:1]
	s_cbranch_execz .LBB52_4
; %bb.3:
	v_add_u32_e32 v6, -8, v7
	ds_read_b64 v[10:11], v6
	s_waitcnt lgkmcnt(0)
	v_cmp_eq_f64_e64 s[0:1], v[10:11], v[2:3]
	v_cndmask_b32_e64 v6, 0, 1, s[0:1]
.LBB52_4:
	s_or_b64 exec, exec, s[2:3]
	s_movk_i32 s0, 0x1cf
	v_cmp_ne_u32_e64 s[0:1], s0, v0
	ds_write_b64 v7, v[2:3] offset:3712
	s_waitcnt lgkmcnt(0)
	s_barrier
	s_and_saveexec_b64 s[2:3], s[0:1]
	s_cbranch_execz .LBB52_6
; %bb.5:
	ds_read_b64 v[10:11], v7 offset:3720
	s_waitcnt lgkmcnt(0)
	v_cmp_eq_f64_e64 s[0:1], v[10:11], v[4:5]
	v_cndmask_b32_e64 v1, 0, 1, s[0:1]
.LBB52_6:
	s_or_b64 exec, exec, s[2:3]
	v_cndmask_b32_e64 v8, 0, 1, vcc
.LBB52_7:
	s_cbranch_execz .LBB52_15
	s_branch .LBB52_27
.LBB52_8:
                                        ; implicit-def: $vgpr6
                                        ; implicit-def: $vgpr1
	s_branch .LBB52_15
.LBB52_9:
                                        ; implicit-def: $vgpr6
                                        ; implicit-def: $vgpr1
	s_cbranch_execz .LBB52_7
; %bb.10:
	s_add_i32 s0, s14, -1
	s_mov_b32 s1, 0
	s_lshl_b64 s[0:1], s[0:1], 3
	s_add_u32 s0, s8, s0
	s_addc_u32 s1, s9, s1
	s_load_dwordx2 s[0:1], s[0:1], 0x0
	v_lshlrev_b32_e32 v8, 3, v0
	v_cmp_ne_u32_e32 vcc, 0, v0
	s_waitcnt vmcnt(0)
	ds_write_b64 v8, v[4:5]
	s_waitcnt lgkmcnt(0)
	v_pk_mov_b32 v[6:7], s[0:1], s[0:1] op_sel:[0,1]
	s_barrier
	s_and_saveexec_b64 s[0:1], vcc
	s_cbranch_execz .LBB52_12
; %bb.11:
	v_add_u32_e32 v1, -8, v8
	ds_read_b64 v[6:7], v1
.LBB52_12:
	s_or_b64 exec, exec, s[0:1]
	s_movk_i32 s2, 0x1cf
	v_cmp_eq_f64_e32 vcc, v[4:5], v[2:3]
	s_waitcnt lgkmcnt(0)
	v_cmp_eq_f64_e64 s[0:1], v[6:7], v[2:3]
	v_cmp_ne_u32_e64 s[2:3], s2, v0
	v_mov_b32_e32 v1, 1
	ds_write_b64 v8, v[2:3] offset:3712
	s_waitcnt lgkmcnt(0)
	s_barrier
	s_and_saveexec_b64 s[6:7], s[2:3]
	s_cbranch_execz .LBB52_14
; %bb.13:
	ds_read_b64 v[6:7], v8 offset:3720
	s_waitcnt lgkmcnt(0)
	v_cmp_eq_f64_e64 s[2:3], v[6:7], v[4:5]
	v_cndmask_b32_e64 v1, 0, 1, s[2:3]
.LBB52_14:
	s_or_b64 exec, exec, s[6:7]
	v_cndmask_b32_e64 v8, 0, 1, vcc
	v_cndmask_b32_e64 v6, 0, 1, s[0:1]
	s_cbranch_execnz .LBB52_27
.LBB52_15:
	s_cmp_eq_u32 s15, 1
	s_waitcnt vmcnt(0)
	v_cmp_eq_f64_e32 vcc, v[4:5], v[2:3]
	v_lshlrev_b32_e32 v12, 3, v0
	v_cmp_ne_u32_e64 s[0:1], 0, v0
	s_cbranch_scc1 .LBB52_21
; %bb.16:
	s_add_i32 s2, s14, 0x3a0
	s_mov_b32 s3, 0
	s_lshl_b64 s[2:3], s[2:3], 3
	s_add_u32 s2, s8, s2
	s_addc_u32 s3, s9, s3
	s_load_dwordx2 s[2:3], s[2:3], 0x0
	v_mov_b32_e32 v6, 1
	ds_write_b64 v12, v[4:5]
	s_waitcnt lgkmcnt(0)
	s_barrier
	s_and_saveexec_b64 s[6:7], s[0:1]
	s_cbranch_execz .LBB52_18
; %bb.17:
	v_add_u32_e32 v1, -8, v12
	ds_read_b64 v[6:7], v1
	s_waitcnt lgkmcnt(0)
	v_cmp_eq_f64_e64 s[0:1], v[6:7], v[2:3]
	v_cndmask_b32_e64 v6, 0, 1, s[0:1]
.LBB52_18:
	s_or_b64 exec, exec, s[6:7]
	s_movk_i32 s0, 0x1cf
	v_cmp_ne_u32_e64 s[0:1], s0, v0
	v_pk_mov_b32 v[10:11], s[2:3], s[2:3] op_sel:[0,1]
	ds_write_b64 v12, v[2:3] offset:3712
	s_waitcnt lgkmcnt(0)
	s_barrier
	s_and_saveexec_b64 s[2:3], s[0:1]
	s_cbranch_execz .LBB52_20
; %bb.19:
	ds_read_b64 v[10:11], v12 offset:3720
.LBB52_20:
	s_or_b64 exec, exec, s[2:3]
	v_cndmask_b32_e64 v8, 0, 1, vcc
	s_waitcnt lgkmcnt(0)
	v_cmp_eq_f64_e32 vcc, v[10:11], v[4:5]
	v_cndmask_b32_e64 v1, 0, 1, vcc
	s_branch .LBB52_27
.LBB52_21:
                                        ; implicit-def: $vgpr6
                                        ; implicit-def: $vgpr1
	s_cbranch_execz .LBB52_27
; %bb.22:
	s_add_i32 s0, s14, -1
	s_mov_b32 s1, 0
	s_lshl_b64 s[2:3], s[0:1], 3
	s_add_u32 s2, s8, s2
	s_addc_u32 s3, s9, s3
	s_add_i32 s0, s14, 0x3a0
	s_lshl_b64 s[0:1], s[0:1], 3
	s_add_u32 s6, s8, s0
	s_addc_u32 s7, s9, s1
	s_load_dwordx2 s[8:9], s[2:3], 0x0
	s_load_dwordx2 s[0:1], s[6:7], 0x0
	v_cmp_ne_u32_e32 vcc, 0, v0
	ds_write_b64 v12, v[4:5]
	s_waitcnt lgkmcnt(0)
	v_pk_mov_b32 v[6:7], s[8:9], s[8:9] op_sel:[0,1]
	s_barrier
	s_and_saveexec_b64 s[2:3], vcc
	s_cbranch_execz .LBB52_24
; %bb.23:
	v_add_u32_e32 v1, -8, v12
	ds_read_b64 v[6:7], v1
.LBB52_24:
	s_or_b64 exec, exec, s[2:3]
	s_movk_i32 s2, 0x1cf
	v_cmp_ne_u32_e32 vcc, s2, v0
	v_pk_mov_b32 v[0:1], s[0:1], s[0:1] op_sel:[0,1]
	ds_write_b64 v12, v[2:3] offset:3712
	s_waitcnt lgkmcnt(0)
	s_barrier
	s_and_saveexec_b64 s[0:1], vcc
	s_cbranch_execz .LBB52_26
; %bb.25:
	ds_read_b64 v[0:1], v12 offset:3720
.LBB52_26:
	s_or_b64 exec, exec, s[0:1]
	v_cmp_eq_f64_e32 vcc, v[4:5], v[2:3]
	v_cndmask_b32_e64 v8, 0, 1, vcc
	v_cmp_eq_f64_e32 vcc, v[6:7], v[2:3]
	v_cndmask_b32_e64 v6, 0, 1, vcc
	s_waitcnt lgkmcnt(0)
	v_cmp_eq_f64_e32 vcc, v[0:1], v[4:5]
	v_cndmask_b32_e64 v1, 0, 1, vcc
.LBB52_27:
	s_add_u32 s0, s10, s4
	v_mov_b32_e32 v7, 0
	s_addc_u32 s1, s11, s5
	v_lshlrev_b32_e32 v0, 3, v9
	v_mov_b32_e32 v9, v7
	global_store_dwordx4 v0, v[6:9], s[0:1]
	s_add_u32 s0, s12, s4
	s_addc_u32 s1, s13, s5
	v_mov_b32_e32 v6, v8
	v_mov_b32_e32 v8, v1
	global_store_dwordx4 v0, v[6:9], s[0:1]
	s_endpgm
	.section	.rodata,"a",@progbits
	.p2align	6, 0x0
	.amdhsa_kernel _Z27flag_heads_and_tails_kernelIdjN6hipcub8EqualityELj464ELj2EEvPT_PxS4_
		.amdhsa_group_segment_fixed_size 7424
		.amdhsa_private_segment_fixed_size 0
		.amdhsa_kernarg_size 24
		.amdhsa_user_sgpr_count 6
		.amdhsa_user_sgpr_private_segment_buffer 1
		.amdhsa_user_sgpr_dispatch_ptr 0
		.amdhsa_user_sgpr_queue_ptr 0
		.amdhsa_user_sgpr_kernarg_segment_ptr 1
		.amdhsa_user_sgpr_dispatch_id 0
		.amdhsa_user_sgpr_flat_scratch_init 0
		.amdhsa_user_sgpr_kernarg_preload_length 0
		.amdhsa_user_sgpr_kernarg_preload_offset 0
		.amdhsa_user_sgpr_private_segment_size 0
		.amdhsa_uses_dynamic_stack 0
		.amdhsa_system_sgpr_private_segment_wavefront_offset 0
		.amdhsa_system_sgpr_workgroup_id_x 1
		.amdhsa_system_sgpr_workgroup_id_y 0
		.amdhsa_system_sgpr_workgroup_id_z 0
		.amdhsa_system_sgpr_workgroup_info 0
		.amdhsa_system_vgpr_workitem_id 0
		.amdhsa_next_free_vgpr 13
		.amdhsa_next_free_sgpr 16
		.amdhsa_accum_offset 16
		.amdhsa_reserve_vcc 1
		.amdhsa_reserve_flat_scratch 0
		.amdhsa_float_round_mode_32 0
		.amdhsa_float_round_mode_16_64 0
		.amdhsa_float_denorm_mode_32 3
		.amdhsa_float_denorm_mode_16_64 3
		.amdhsa_dx10_clamp 1
		.amdhsa_ieee_mode 1
		.amdhsa_fp16_overflow 0
		.amdhsa_tg_split 0
		.amdhsa_exception_fp_ieee_invalid_op 0
		.amdhsa_exception_fp_denorm_src 0
		.amdhsa_exception_fp_ieee_div_zero 0
		.amdhsa_exception_fp_ieee_overflow 0
		.amdhsa_exception_fp_ieee_underflow 0
		.amdhsa_exception_fp_ieee_inexact 0
		.amdhsa_exception_int_div_zero 0
	.end_amdhsa_kernel
	.section	.text._Z27flag_heads_and_tails_kernelIdjN6hipcub8EqualityELj464ELj2EEvPT_PxS4_,"axG",@progbits,_Z27flag_heads_and_tails_kernelIdjN6hipcub8EqualityELj464ELj2EEvPT_PxS4_,comdat
.Lfunc_end52:
	.size	_Z27flag_heads_and_tails_kernelIdjN6hipcub8EqualityELj464ELj2EEvPT_PxS4_, .Lfunc_end52-_Z27flag_heads_and_tails_kernelIdjN6hipcub8EqualityELj464ELj2EEvPT_PxS4_
                                        ; -- End function
	.section	.AMDGPU.csdata,"",@progbits
; Kernel info:
; codeLenInByte = 924
; NumSgprs: 20
; NumVgprs: 13
; NumAgprs: 0
; TotalNumVgprs: 13
; ScratchSize: 0
; MemoryBound: 0
; FloatMode: 240
; IeeeMode: 1
; LDSByteSize: 7424 bytes/workgroup (compile time only)
; SGPRBlocks: 2
; VGPRBlocks: 1
; NumSGPRsForWavesPerEU: 20
; NumVGPRsForWavesPerEU: 13
; AccumOffset: 16
; Occupancy: 8
; WaveLimiterHint : 0
; COMPUTE_PGM_RSRC2:SCRATCH_EN: 0
; COMPUTE_PGM_RSRC2:USER_SGPR: 6
; COMPUTE_PGM_RSRC2:TRAP_HANDLER: 0
; COMPUTE_PGM_RSRC2:TGID_X_EN: 1
; COMPUTE_PGM_RSRC2:TGID_Y_EN: 0
; COMPUTE_PGM_RSRC2:TGID_Z_EN: 0
; COMPUTE_PGM_RSRC2:TIDIG_COMP_CNT: 0
; COMPUTE_PGM_RSRC3_GFX90A:ACCUM_OFFSET: 3
; COMPUTE_PGM_RSRC3_GFX90A:TG_SPLIT: 0
	.section	.text._Z27flag_heads_and_tails_kernelIdi15custom_flag_op2IdELj33ELj5EEvPT_PxS4_,"axG",@progbits,_Z27flag_heads_and_tails_kernelIdi15custom_flag_op2IdELj33ELj5EEvPT_PxS4_,comdat
	.protected	_Z27flag_heads_and_tails_kernelIdi15custom_flag_op2IdELj33ELj5EEvPT_PxS4_ ; -- Begin function _Z27flag_heads_and_tails_kernelIdi15custom_flag_op2IdELj33ELj5EEvPT_PxS4_
	.globl	_Z27flag_heads_and_tails_kernelIdi15custom_flag_op2IdELj33ELj5EEvPT_PxS4_
	.p2align	8
	.type	_Z27flag_heads_and_tails_kernelIdi15custom_flag_op2IdELj33ELj5EEvPT_PxS4_,@function
_Z27flag_heads_and_tails_kernelIdi15custom_flag_op2IdELj33ELj5EEvPT_PxS4_: ; @_Z27flag_heads_and_tails_kernelIdi15custom_flag_op2IdELj33ELj5EEvPT_PxS4_
; %bb.0:
	s_load_dwordx4 s[12:15], s[4:5], 0x0
	s_load_dwordx2 s[10:11], s[4:5], 0x10
	s_mul_i32 s18, s6, 0xa5
	s_mov_b32 s19, 0
	s_lshl_b64 s[16:17], s[18:19], 3
	s_waitcnt lgkmcnt(0)
	s_add_u32 s0, s12, s16
	v_mul_u32_u24_e32 v1, 5, v0
	s_addc_u32 s1, s13, s17
	v_lshlrev_b32_e32 v26, 3, v1
	global_load_dwordx2 v[20:21], v26, s[0:1] offset:32
	global_load_dwordx4 v[10:13], v26, s[0:1] offset:16
	global_load_dwordx4 v[2:5], v26, s[0:1]
	s_and_b32 s19, s6, 3
	s_cmp_lt_i32 s19, 2
	s_cbranch_scc1 .LBB53_8
; %bb.1:
	s_cmp_gt_i32 s19, 2
	s_cbranch_scc0 .LBB53_9
; %bb.2:
	s_mov_b32 s8, 0
	s_waitcnt vmcnt(1)
	v_add_f64 v[6:7], v[20:21], -v[12:13]
	s_mov_b32 s9, 0x40140000
	v_cmp_lt_f64_e32 vcc, s[8:9], v[6:7]
	v_add_f64 v[6:7], v[12:13], -v[10:11]
	v_cmp_lt_f64_e64 s[0:1], s[8:9], v[6:7]
	s_waitcnt vmcnt(0)
	v_add_f64 v[6:7], v[10:11], -v[4:5]
	v_cmp_lt_f64_e64 s[2:3], s[8:9], v[6:7]
	v_add_f64 v[6:7], v[4:5], -v[2:3]
	v_lshlrev_b32_e32 v1, 3, v0
	v_cmp_lt_f64_e64 s[4:5], s[8:9], v[6:7]
	v_cmp_ne_u32_e64 s[6:7], 0, v0
	v_mov_b32_e32 v22, 1
	v_mov_b32_e32 v6, 1
	ds_write_b64 v1, v[20:21]
	s_waitcnt lgkmcnt(0)
	; wave barrier
	s_waitcnt lgkmcnt(0)
	s_and_saveexec_b64 s[20:21], s[6:7]
	s_cbranch_execz .LBB53_4
; %bb.3:
	v_add_u32_e32 v6, -8, v1
	ds_read_b64 v[6:7], v6
	s_waitcnt lgkmcnt(0)
	v_add_f64 v[6:7], v[2:3], -v[6:7]
	v_cmp_lt_f64_e64 s[6:7], s[8:9], v[6:7]
	v_cndmask_b32_e64 v6, 0, 1, s[6:7]
.LBB53_4:
	s_or_b64 exec, exec, s[20:21]
	v_cmp_ne_u32_e64 s[6:7], 32, v0
	ds_write_b64 v1, v[2:3] offset:264
	s_waitcnt lgkmcnt(0)
	; wave barrier
	s_waitcnt lgkmcnt(0)
	s_and_saveexec_b64 s[8:9], s[6:7]
	s_cbranch_execz .LBB53_6
; %bb.5:
	ds_read_b64 v[8:9], v1 offset:272
	s_mov_b32 s6, 0
	s_mov_b32 s7, 0x40140000
	s_waitcnt lgkmcnt(0)
	v_add_f64 v[8:9], v[8:9], -v[20:21]
	v_cmp_lt_f64_e64 s[6:7], s[6:7], v[8:9]
	v_cndmask_b32_e64 v22, 0, 1, s[6:7]
.LBB53_6:
	s_or_b64 exec, exec, s[8:9]
	v_cndmask_b32_e64 v14, 0, 1, vcc
	v_cndmask_b32_e64 v18, 0, 1, s[0:1]
	v_cndmask_b32_e64 v16, 0, 1, s[2:3]
	;; [unrolled: 1-line block ×3, first 2 shown]
.LBB53_7:
	s_cbranch_execz .LBB53_15
	s_branch .LBB53_27
.LBB53_8:
                                        ; implicit-def: $vgpr6
                                        ; implicit-def: $vgpr22
                                        ; implicit-def: $vgpr14
                                        ; implicit-def: $vgpr18
	s_branch .LBB53_15
.LBB53_9:
                                        ; implicit-def: $vgpr6
                                        ; implicit-def: $vgpr22
                                        ; implicit-def: $vgpr14
                                        ; implicit-def: $vgpr18
	s_cbranch_execz .LBB53_7
; %bb.10:
	s_add_i32 s0, s18, -1
	s_mov_b32 s1, 0
	s_lshl_b64 s[0:1], s[0:1], 3
	s_add_u32 s0, s12, s0
	s_addc_u32 s1, s13, s1
	s_load_dwordx2 s[0:1], s[0:1], 0x0
	v_lshlrev_b32_e32 v1, 3, v0
	v_cmp_ne_u32_e32 vcc, 0, v0
	s_waitcnt vmcnt(2)
	ds_write_b64 v1, v[20:21]
	s_waitcnt lgkmcnt(0)
	v_pk_mov_b32 v[6:7], s[0:1], s[0:1] op_sel:[0,1]
	; wave barrier
	s_and_saveexec_b64 s[0:1], vcc
	s_cbranch_execz .LBB53_12
; %bb.11:
	v_add_u32_e32 v6, -8, v1
	ds_read_b64 v[6:7], v6
.LBB53_12:
	s_or_b64 exec, exec, s[0:1]
	s_mov_b32 s20, 0
	s_waitcnt vmcnt(1)
	v_add_f64 v[8:9], v[20:21], -v[12:13]
	s_mov_b32 s21, 0x40140000
	v_cmp_lt_f64_e32 vcc, s[20:21], v[8:9]
	v_add_f64 v[8:9], v[12:13], -v[10:11]
	v_cmp_lt_f64_e64 s[0:1], s[20:21], v[8:9]
	s_waitcnt vmcnt(0)
	v_add_f64 v[8:9], v[10:11], -v[4:5]
	v_cmp_lt_f64_e64 s[2:3], s[20:21], v[8:9]
	v_add_f64 v[8:9], v[4:5], -v[2:3]
	s_waitcnt lgkmcnt(0)
	v_add_f64 v[6:7], v[2:3], -v[6:7]
	v_cmp_lt_f64_e64 s[4:5], s[20:21], v[8:9]
	v_cmp_lt_f64_e64 s[6:7], s[20:21], v[6:7]
	v_cmp_ne_u32_e64 s[8:9], 32, v0
	v_mov_b32_e32 v22, 1
	ds_write_b64 v1, v[2:3] offset:264
	s_waitcnt lgkmcnt(0)
	; wave barrier
	s_waitcnt lgkmcnt(0)
	s_and_saveexec_b64 s[22:23], s[8:9]
	s_cbranch_execz .LBB53_14
; %bb.13:
	ds_read_b64 v[6:7], v1 offset:272
	s_waitcnt lgkmcnt(0)
	v_add_f64 v[6:7], v[6:7], -v[20:21]
	v_cmp_lt_f64_e64 s[8:9], s[20:21], v[6:7]
	v_cndmask_b32_e64 v22, 0, 1, s[8:9]
.LBB53_14:
	s_or_b64 exec, exec, s[22:23]
	v_cndmask_b32_e64 v14, 0, 1, vcc
	v_cndmask_b32_e64 v18, 0, 1, s[0:1]
	v_cndmask_b32_e64 v16, 0, 1, s[2:3]
	;; [unrolled: 1-line block ×4, first 2 shown]
	s_cbranch_execnz .LBB53_27
.LBB53_15:
	s_cmp_eq_u32 s19, 1
	s_waitcnt vmcnt(1)
	v_add_f64 v[24:25], v[20:21], -v[12:13]
	v_add_f64 v[12:13], v[12:13], -v[10:11]
	s_waitcnt vmcnt(0)
	v_add_f64 v[10:11], v[10:11], -v[4:5]
	v_add_f64 v[4:5], v[4:5], -v[2:3]
	v_lshlrev_b32_e32 v9, 3, v0
	v_cmp_ne_u32_e64 s[6:7], 0, v0
	s_cbranch_scc1 .LBB53_21
; %bb.16:
	s_add_i32 s0, s18, 0xa5
	s_mov_b32 s1, 0
	s_lshl_b64 s[0:1], s[0:1], 3
	s_add_u32 s0, s12, s0
	s_addc_u32 s1, s13, s1
	s_load_dwordx2 s[8:9], s[0:1], 0x0
	s_mov_b32 s20, 0
	s_mov_b32 s21, 0x40140000
	v_cmp_lt_f64_e32 vcc, s[20:21], v[24:25]
	v_cmp_lt_f64_e64 s[0:1], s[20:21], v[12:13]
	v_cmp_lt_f64_e64 s[2:3], s[20:21], v[10:11]
	v_cmp_lt_f64_e64 s[4:5], s[20:21], v[4:5]
	v_mov_b32_e32 v6, 1
	ds_write_b64 v9, v[20:21]
	s_waitcnt lgkmcnt(0)
	; wave barrier
	s_waitcnt lgkmcnt(0)
	s_and_saveexec_b64 s[22:23], s[6:7]
	s_cbranch_execz .LBB53_18
; %bb.17:
	v_add_u32_e32 v1, -8, v9
	ds_read_b64 v[6:7], v1
	s_waitcnt lgkmcnt(0)
	v_add_f64 v[6:7], v[2:3], -v[6:7]
	v_cmp_lt_f64_e64 s[6:7], s[20:21], v[6:7]
	v_cndmask_b32_e64 v6, 0, 1, s[6:7]
.LBB53_18:
	s_or_b64 exec, exec, s[22:23]
	v_cmp_ne_u32_e64 s[6:7], 32, v0
	v_pk_mov_b32 v[22:23], s[8:9], s[8:9] op_sel:[0,1]
	ds_write_b64 v9, v[2:3] offset:264
	s_waitcnt lgkmcnt(0)
	; wave barrier
	s_waitcnt lgkmcnt(0)
	s_and_saveexec_b64 s[8:9], s[6:7]
	s_cbranch_execz .LBB53_20
; %bb.19:
	ds_read_b64 v[22:23], v9 offset:272
.LBB53_20:
	s_or_b64 exec, exec, s[8:9]
	v_cndmask_b32_e64 v18, 0, 1, s[0:1]
	s_mov_b32 s0, 0
	s_waitcnt lgkmcnt(0)
	v_add_f64 v[22:23], v[22:23], -v[20:21]
	s_mov_b32 s1, 0x40140000
	v_cndmask_b32_e64 v14, 0, 1, vcc
	v_cmp_lt_f64_e32 vcc, s[0:1], v[22:23]
	v_cndmask_b32_e64 v16, 0, 1, s[2:3]
	v_cndmask_b32_e64 v8, 0, 1, s[4:5]
	v_cndmask_b32_e64 v22, 0, 1, vcc
	s_branch .LBB53_27
.LBB53_21:
                                        ; implicit-def: $vgpr6
                                        ; implicit-def: $vgpr22
                                        ; implicit-def: $vgpr14
                                        ; implicit-def: $vgpr18
	s_cbranch_execz .LBB53_27
; %bb.22:
	s_add_i32 s0, s18, -1
	s_mov_b32 s1, 0
	s_lshl_b64 s[2:3], s[0:1], 3
	s_add_u32 s2, s12, s2
	s_addc_u32 s3, s13, s3
	s_add_i32 s0, s18, 0xa5
	s_lshl_b64 s[0:1], s[0:1], 3
	s_add_u32 s4, s12, s0
	s_addc_u32 s5, s13, s1
	s_load_dwordx2 s[6:7], s[2:3], 0x0
	s_load_dwordx2 s[0:1], s[4:5], 0x0
	v_cmp_ne_u32_e32 vcc, 0, v0
	ds_write_b64 v9, v[20:21]
	s_waitcnt lgkmcnt(0)
	v_pk_mov_b32 v[6:7], s[6:7], s[6:7] op_sel:[0,1]
	; wave barrier
	s_and_saveexec_b64 s[2:3], vcc
	s_cbranch_execz .LBB53_24
; %bb.23:
	v_add_u32_e32 v1, -8, v9
	ds_read_b64 v[6:7], v1
.LBB53_24:
	s_or_b64 exec, exec, s[2:3]
	v_cmp_ne_u32_e32 vcc, 32, v0
	v_pk_mov_b32 v[0:1], s[0:1], s[0:1] op_sel:[0,1]
	ds_write_b64 v9, v[2:3] offset:264
	s_waitcnt lgkmcnt(0)
	; wave barrier
	s_waitcnt lgkmcnt(0)
	s_and_saveexec_b64 s[0:1], vcc
	s_cbranch_execz .LBB53_26
; %bb.25:
	ds_read_b64 v[0:1], v9 offset:272
.LBB53_26:
	s_or_b64 exec, exec, s[0:1]
	s_mov_b32 s0, 0
	s_mov_b32 s1, 0x40140000
	v_cmp_lt_f64_e32 vcc, s[0:1], v[24:25]
	v_cndmask_b32_e64 v14, 0, 1, vcc
	v_cmp_lt_f64_e32 vcc, s[0:1], v[12:13]
	v_cndmask_b32_e64 v18, 0, 1, vcc
	;; [unrolled: 2-line block ×3, first 2 shown]
	v_cmp_lt_f64_e32 vcc, s[0:1], v[4:5]
	v_add_f64 v[2:3], v[2:3], -v[6:7]
	v_cndmask_b32_e64 v8, 0, 1, vcc
	v_cmp_lt_f64_e32 vcc, s[0:1], v[2:3]
	s_waitcnt lgkmcnt(0)
	v_add_f64 v[0:1], v[0:1], -v[20:21]
	v_cndmask_b32_e64 v6, 0, 1, vcc
	v_cmp_lt_f64_e32 vcc, s[0:1], v[0:1]
	v_cndmask_b32_e64 v22, 0, 1, vcc
.LBB53_27:
	s_add_u32 s0, s14, s16
	s_addc_u32 s1, s15, s17
	v_ashrrev_i32_e32 v7, 31, v6
	v_ashrrev_i32_e32 v9, 31, v8
	;; [unrolled: 1-line block ×5, first 2 shown]
	global_store_dwordx4 v26, v[6:9], s[0:1]
	global_store_dwordx4 v26, v[16:19], s[0:1] offset:16
	global_store_dwordx2 v26, v[14:15], s[0:1] offset:32
	s_add_u32 s0, s10, s16
	s_addc_u32 s1, s11, s17
	v_mov_b32_e32 v0, v8
	v_mov_b32_e32 v1, v9
	s_waitcnt vmcnt(3)
	v_mov_b32_e32 v2, v16
	v_mov_b32_e32 v3, v17
	v_mov_b32_e32 v12, v18
	v_mov_b32_e32 v13, v19
	v_ashrrev_i32_e32 v23, 31, v22
	global_store_dwordx4 v26, v[0:3], s[0:1]
	global_store_dwordx4 v26, v[12:15], s[0:1] offset:16
	global_store_dwordx2 v26, v[22:23], s[0:1] offset:32
	s_endpgm
	.section	.rodata,"a",@progbits
	.p2align	6, 0x0
	.amdhsa_kernel _Z27flag_heads_and_tails_kernelIdi15custom_flag_op2IdELj33ELj5EEvPT_PxS4_
		.amdhsa_group_segment_fixed_size 528
		.amdhsa_private_segment_fixed_size 0
		.amdhsa_kernarg_size 24
		.amdhsa_user_sgpr_count 6
		.amdhsa_user_sgpr_private_segment_buffer 1
		.amdhsa_user_sgpr_dispatch_ptr 0
		.amdhsa_user_sgpr_queue_ptr 0
		.amdhsa_user_sgpr_kernarg_segment_ptr 1
		.amdhsa_user_sgpr_dispatch_id 0
		.amdhsa_user_sgpr_flat_scratch_init 0
		.amdhsa_user_sgpr_kernarg_preload_length 0
		.amdhsa_user_sgpr_kernarg_preload_offset 0
		.amdhsa_user_sgpr_private_segment_size 0
		.amdhsa_uses_dynamic_stack 0
		.amdhsa_system_sgpr_private_segment_wavefront_offset 0
		.amdhsa_system_sgpr_workgroup_id_x 1
		.amdhsa_system_sgpr_workgroup_id_y 0
		.amdhsa_system_sgpr_workgroup_id_z 0
		.amdhsa_system_sgpr_workgroup_info 0
		.amdhsa_system_vgpr_workitem_id 0
		.amdhsa_next_free_vgpr 27
		.amdhsa_next_free_sgpr 24
		.amdhsa_accum_offset 28
		.amdhsa_reserve_vcc 1
		.amdhsa_reserve_flat_scratch 0
		.amdhsa_float_round_mode_32 0
		.amdhsa_float_round_mode_16_64 0
		.amdhsa_float_denorm_mode_32 3
		.amdhsa_float_denorm_mode_16_64 3
		.amdhsa_dx10_clamp 1
		.amdhsa_ieee_mode 1
		.amdhsa_fp16_overflow 0
		.amdhsa_tg_split 0
		.amdhsa_exception_fp_ieee_invalid_op 0
		.amdhsa_exception_fp_denorm_src 0
		.amdhsa_exception_fp_ieee_div_zero 0
		.amdhsa_exception_fp_ieee_overflow 0
		.amdhsa_exception_fp_ieee_underflow 0
		.amdhsa_exception_fp_ieee_inexact 0
		.amdhsa_exception_int_div_zero 0
	.end_amdhsa_kernel
	.section	.text._Z27flag_heads_and_tails_kernelIdi15custom_flag_op2IdELj33ELj5EEvPT_PxS4_,"axG",@progbits,_Z27flag_heads_and_tails_kernelIdi15custom_flag_op2IdELj33ELj5EEvPT_PxS4_,comdat
.Lfunc_end53:
	.size	_Z27flag_heads_and_tails_kernelIdi15custom_flag_op2IdELj33ELj5EEvPT_PxS4_, .Lfunc_end53-_Z27flag_heads_and_tails_kernelIdi15custom_flag_op2IdELj33ELj5EEvPT_PxS4_
                                        ; -- End function
	.section	.AMDGPU.csdata,"",@progbits
; Kernel info:
; codeLenInByte = 1408
; NumSgprs: 28
; NumVgprs: 27
; NumAgprs: 0
; TotalNumVgprs: 27
; ScratchSize: 0
; MemoryBound: 0
; FloatMode: 240
; IeeeMode: 1
; LDSByteSize: 528 bytes/workgroup (compile time only)
; SGPRBlocks: 3
; VGPRBlocks: 3
; NumSGPRsForWavesPerEU: 28
; NumVGPRsForWavesPerEU: 27
; AccumOffset: 28
; Occupancy: 8
; WaveLimiterHint : 0
; COMPUTE_PGM_RSRC2:SCRATCH_EN: 0
; COMPUTE_PGM_RSRC2:USER_SGPR: 6
; COMPUTE_PGM_RSRC2:TRAP_HANDLER: 0
; COMPUTE_PGM_RSRC2:TGID_X_EN: 1
; COMPUTE_PGM_RSRC2:TGID_Y_EN: 0
; COMPUTE_PGM_RSRC2:TGID_Z_EN: 0
; COMPUTE_PGM_RSRC2:TIDIG_COMP_CNT: 0
; COMPUTE_PGM_RSRC3_GFX90A:ACCUM_OFFSET: 6
; COMPUTE_PGM_RSRC3_GFX90A:TG_SPLIT: 0
	.section	.text._Z27flag_heads_and_tails_kernelIssN6hipcub8EqualityELj512ELj8EEvPT_PxS4_,"axG",@progbits,_Z27flag_heads_and_tails_kernelIssN6hipcub8EqualityELj512ELj8EEvPT_PxS4_,comdat
	.protected	_Z27flag_heads_and_tails_kernelIssN6hipcub8EqualityELj512ELj8EEvPT_PxS4_ ; -- Begin function _Z27flag_heads_and_tails_kernelIssN6hipcub8EqualityELj512ELj8EEvPT_PxS4_
	.globl	_Z27flag_heads_and_tails_kernelIssN6hipcub8EqualityELj512ELj8EEvPT_PxS4_
	.p2align	8
	.type	_Z27flag_heads_and_tails_kernelIssN6hipcub8EqualityELj512ELj8EEvPT_PxS4_,@function
_Z27flag_heads_and_tails_kernelIssN6hipcub8EqualityELj512ELj8EEvPT_PxS4_: ; @_Z27flag_heads_and_tails_kernelIssN6hipcub8EqualityELj512ELj8EEvPT_PxS4_
; %bb.0:
	s_load_dwordx4 s[8:11], s[4:5], 0x0
	s_load_dwordx2 s[2:3], s[4:5], 0x10
	s_lshl_b32 s4, s6, 12
	s_mov_b32 s5, 0
	s_lshl_b64 s[0:1], s[4:5], 1
	s_waitcnt lgkmcnt(0)
	s_add_u32 s0, s8, s0
	s_addc_u32 s1, s9, s1
	v_lshlrev_b32_e32 v1, 4, v0
	global_load_dwordx4 v[2:5], v1, s[0:1]
	s_and_b32 s6, s6, 3
	v_lshlrev_b32_e32 v1, 3, v0
	s_cmp_lt_i32 s6, 2
	s_waitcnt vmcnt(0)
	v_lshrrev_b32_e32 v6, 16, v5
	s_cbranch_scc1 .LBB54_8
; %bb.1:
	s_cmp_gt_i32 s6, 2
	s_cbranch_scc0 .LBB54_9
; %bb.2:
	v_cmp_eq_u16_sdwa s[0:1], v5, v4 src0_sel:DWORD src1_sel:WORD_1
	v_cndmask_b32_e64 v12, 0, 1, s[0:1]
	v_cmp_eq_u16_sdwa s[0:1], v4, v4 src0_sel:WORD_1 src1_sel:DWORD
	v_cndmask_b32_e64 v16, 0, 1, s[0:1]
	v_cmp_eq_u16_sdwa s[0:1], v4, v3 src0_sel:DWORD src1_sel:WORD_1
	v_cndmask_b32_e64 v13, 0, 1, s[0:1]
	v_cmp_eq_u16_sdwa s[0:1], v3, v3 src0_sel:WORD_1 src1_sel:DWORD
	v_cndmask_b32_e64 v17, 0, 1, s[0:1]
	v_cmp_eq_u16_sdwa s[0:1], v3, v2 src0_sel:DWORD src1_sel:WORD_1
	v_cmp_eq_u16_e32 vcc, v6, v5
	v_cndmask_b32_e64 v14, 0, 1, s[0:1]
	v_cmp_eq_u16_sdwa s[0:1], v2, v2 src0_sel:WORD_1 src1_sel:DWORD
	v_cndmask_b32_e64 v10, 0, 1, vcc
	v_cndmask_b32_e64 v18, 0, 1, s[0:1]
	s_mov_b32 s7, 0x5040100
	v_mov_b32_e32 v19, 0x5040100
	v_lshlrev_b32_e32 v15, 1, v0
	v_perm_b32 v11, v18, 1, v19
	v_perm_b32 v9, v17, v14, s7
	v_perm_b32 v8, v16, v13, s7
	v_perm_b32 v7, v10, v12, s7
	v_cmp_ne_u32_e32 vcc, 0, v0
	ds_write_b16 v15, v6
	s_waitcnt lgkmcnt(0)
	s_barrier
	s_and_saveexec_b64 s[0:1], vcc
	s_cbranch_execz .LBB54_4
; %bb.3:
	v_add_u32_e32 v20, -2, v15
	ds_read_u16 v20, v20
	s_mov_b32 s12, 0xffff
	s_waitcnt lgkmcnt(0)
	v_cmp_eq_u16_e32 vcc, v2, v20
	v_cndmask_b32_e64 v20, 0, 1, vcc
	v_bfi_b32 v11, s12, v20, v11
.LBB54_4:
	s_or_b64 exec, exec, s[0:1]
	s_movk_i32 s0, 0x1ff
	v_perm_b32 v14, v14, v18, s7
	v_perm_b32 v13, v13, v17, s7
	;; [unrolled: 1-line block ×4, first 2 shown]
	v_cmp_ne_u32_e32 vcc, s0, v0
	ds_write_b16 v15, v2 offset:1024
	s_waitcnt lgkmcnt(0)
	s_barrier
	s_and_saveexec_b64 s[0:1], vcc
	s_cbranch_execz .LBB54_6
; %bb.5:
	ds_read_u16 v15, v15 offset:1026
	s_waitcnt lgkmcnt(0)
	v_cmp_eq_u16_e32 vcc, v15, v6
	v_cndmask_b32_e64 v15, 0, 1, vcc
	v_perm_b32 v10, v15, v10, s7
.LBB54_6:
	s_or_b64 exec, exec, s[0:1]
.LBB54_7:
	s_cbranch_execz .LBB54_15
	s_branch .LBB54_27
.LBB54_8:
                                        ; implicit-def: $vgpr7
                                        ; implicit-def: $vgpr8
                                        ; implicit-def: $vgpr9
                                        ; implicit-def: $vgpr11
                                        ; implicit-def: $vgpr10
                                        ; implicit-def: $vgpr12
                                        ; implicit-def: $vgpr13
                                        ; implicit-def: $vgpr14
	s_branch .LBB54_15
.LBB54_9:
                                        ; implicit-def: $vgpr7
                                        ; implicit-def: $vgpr8
                                        ; implicit-def: $vgpr9
                                        ; implicit-def: $vgpr11
                                        ; implicit-def: $vgpr10
                                        ; implicit-def: $vgpr12
                                        ; implicit-def: $vgpr13
                                        ; implicit-def: $vgpr14
	s_cbranch_execz .LBB54_7
; %bb.10:
	s_add_i32 s0, s4, -1
	s_mov_b32 s1, 0
	s_lshl_b64 s[0:1], s[0:1], 1
	s_add_u32 s0, s8, s0
	s_addc_u32 s1, s9, s1
	v_mov_b32_e32 v7, 0
	global_load_ushort v10, v7, s[0:1]
	v_lshlrev_b32_e32 v7, 1, v0
	v_cmp_ne_u32_e32 vcc, 0, v0
	ds_write_b16 v7, v6
	s_waitcnt lgkmcnt(0)
	s_barrier
	s_and_saveexec_b64 s[0:1], vcc
	s_cbranch_execz .LBB54_12
; %bb.11:
	v_add_u32_e32 v8, -2, v7
	s_waitcnt vmcnt(0)
	ds_read_u16 v10, v8
.LBB54_12:
	s_or_b64 exec, exec, s[0:1]
	v_cmp_eq_u16_sdwa s[0:1], v5, v4 src0_sel:DWORD src1_sel:WORD_1
	v_cndmask_b32_e64 v16, 0, 1, s[0:1]
	v_cmp_eq_u16_sdwa s[0:1], v4, v4 src0_sel:WORD_1 src1_sel:DWORD
	v_cndmask_b32_e64 v8, 0, 1, s[0:1]
	v_cmp_eq_u16_sdwa s[0:1], v4, v3 src0_sel:DWORD src1_sel:WORD_1
	v_cndmask_b32_e64 v17, 0, 1, s[0:1]
	v_cmp_eq_u16_sdwa s[0:1], v3, v3 src0_sel:WORD_1 src1_sel:DWORD
	v_cndmask_b32_e64 v9, 0, 1, s[0:1]
	v_cmp_eq_u16_sdwa s[0:1], v3, v2 src0_sel:DWORD src1_sel:WORD_1
	v_cmp_eq_u16_e32 vcc, v6, v5
	v_cndmask_b32_e64 v18, 0, 1, s[0:1]
	v_cmp_eq_u16_sdwa s[0:1], v2, v2 src0_sel:WORD_1 src1_sel:DWORD
	v_cndmask_b32_e64 v15, 0, 1, vcc
	v_cndmask_b32_e64 v11, 0, 1, s[0:1]
	s_waitcnt vmcnt(0) lgkmcnt(0)
	v_cmp_eq_u16_e32 vcc, v2, v10
	s_mov_b32 s7, 0x5040100
	v_mov_b32_e32 v10, 0x5040100
	s_movk_i32 s0, 0x1ff
	v_cndmask_b32_e64 v19, 0, 1, vcc
	v_perm_b32 v14, v18, v11, s7
	v_perm_b32 v13, v17, v9, s7
	;; [unrolled: 1-line block ×4, first 2 shown]
	v_cmp_ne_u32_e32 vcc, s0, v0
	ds_write_b16 v7, v2 offset:1024
	s_waitcnt lgkmcnt(0)
	s_barrier
	s_and_saveexec_b64 s[0:1], vcc
	s_cbranch_execz .LBB54_14
; %bb.13:
	ds_read_u16 v7, v7 offset:1026
	s_waitcnt lgkmcnt(0)
	v_cmp_eq_u16_e32 vcc, v7, v6
	v_cndmask_b32_e64 v7, 0, 1, vcc
	v_perm_b32 v10, v7, v10, s7
.LBB54_14:
	s_or_b64 exec, exec, s[0:1]
	v_perm_b32 v11, v11, v19, s7
	v_perm_b32 v9, v9, v18, s7
	;; [unrolled: 1-line block ×4, first 2 shown]
	s_cbranch_execnz .LBB54_27
.LBB54_15:
	s_cmp_eq_u32 s6, 1
	v_cmp_eq_u16_e64 s[0:1], v6, v5
	v_cmp_eq_u16_sdwa s[6:7], v5, v4 src0_sel:DWORD src1_sel:WORD_1
	v_cmp_eq_u16_sdwa s[12:13], v4, v4 src0_sel:WORD_1 src1_sel:DWORD
	v_cmp_eq_u16_sdwa s[14:15], v4, v3 src0_sel:DWORD src1_sel:WORD_1
	v_cmp_eq_u16_sdwa s[16:17], v3, v3 src0_sel:WORD_1 src1_sel:DWORD
	;; [unrolled: 2-line block ×3, first 2 shown]
	v_lshlrev_b32_e32 v15, 1, v0
	v_cmp_ne_u32_e32 vcc, 0, v0
	s_cbranch_scc1 .LBB54_21
; %bb.16:
	s_add_i32 s22, s4, 0x1000
	s_mov_b32 s23, 0
	s_lshl_b64 s[22:23], s[22:23], 1
	s_add_u32 s22, s8, s22
	s_addc_u32 s23, s9, s23
	v_mov_b32_e32 v7, 0
	global_load_ushort v14, v7, s[22:23]
	v_cndmask_b32_e64 v10, 0, 1, s[0:1]
	v_cndmask_b32_e64 v12, 0, 1, s[6:7]
	;; [unrolled: 1-line block ×7, first 2 shown]
	s_mov_b32 s0, 0x5040100
	v_mov_b32_e32 v7, 0x5040100
	v_perm_b32 v11, v19, 1, v7
	v_perm_b32 v9, v17, v18, s0
	;; [unrolled: 1-line block ×4, first 2 shown]
	ds_write_b16 v15, v6
	s_waitcnt lgkmcnt(0)
	s_barrier
	s_and_saveexec_b64 s[0:1], vcc
	s_cbranch_execz .LBB54_18
; %bb.17:
	v_add_u32_e32 v20, -2, v15
	ds_read_u16 v20, v20
	s_mov_b32 s6, 0xffff
	s_waitcnt lgkmcnt(0)
	v_cmp_eq_u16_e32 vcc, v2, v20
	v_cndmask_b32_e64 v20, 0, 1, vcc
	v_bfi_b32 v11, s6, v20, v11
.LBB54_18:
	s_or_b64 exec, exec, s[0:1]
	s_movk_i32 s0, 0x1ff
	v_cmp_ne_u32_e32 vcc, s0, v0
	ds_write_b16 v15, v2 offset:1024
	s_waitcnt lgkmcnt(0)
	s_barrier
	s_and_saveexec_b64 s[0:1], vcc
	s_cbranch_execz .LBB54_20
; %bb.19:
	s_waitcnt vmcnt(0)
	ds_read_u16 v14, v15 offset:1026
.LBB54_20:
	s_or_b64 exec, exec, s[0:1]
	s_waitcnt vmcnt(0) lgkmcnt(0)
	v_cmp_eq_u16_e32 vcc, v14, v6
	v_cndmask_b32_e64 v20, 0, 1, vcc
	s_mov_b32 s0, 0x5040100
	v_perm_b32 v14, v18, v19, s0
	v_perm_b32 v13, v13, v17, s0
	;; [unrolled: 1-line block ×4, first 2 shown]
	s_branch .LBB54_27
.LBB54_21:
                                        ; implicit-def: $vgpr7
                                        ; implicit-def: $vgpr8
                                        ; implicit-def: $vgpr9
                                        ; implicit-def: $vgpr11
                                        ; implicit-def: $vgpr10
                                        ; implicit-def: $vgpr12
                                        ; implicit-def: $vgpr13
                                        ; implicit-def: $vgpr14
	s_cbranch_execz .LBB54_27
; %bb.22:
	s_add_i32 s0, s4, -1
	s_mov_b32 s1, 0
	s_lshl_b64 s[6:7], s[0:1], 1
	s_add_u32 s6, s8, s6
	s_addc_u32 s7, s9, s7
	s_add_i32 s0, s4, 0x1000
	s_lshl_b64 s[0:1], s[0:1], 1
	v_mov_b32_e32 v9, 0
	s_add_u32 s0, s8, s0
	s_addc_u32 s1, s9, s1
	global_load_ushort v7, v9, s[6:7]
	global_load_ushort v8, v9, s[0:1]
	v_cmp_ne_u32_e32 vcc, 0, v0
	ds_write_b16 v15, v6
	s_waitcnt lgkmcnt(0)
	s_barrier
	s_and_saveexec_b64 s[0:1], vcc
	s_cbranch_execz .LBB54_24
; %bb.23:
	s_waitcnt vmcnt(1)
	v_add_u32_e32 v7, -2, v15
	ds_read_u16 v7, v7
.LBB54_24:
	s_or_b64 exec, exec, s[0:1]
	s_movk_i32 s0, 0x1ff
	v_cmp_ne_u32_e32 vcc, s0, v0
	ds_write_b16 v15, v2 offset:1024
	s_waitcnt lgkmcnt(0)
	s_barrier
	s_and_saveexec_b64 s[0:1], vcc
	s_cbranch_execz .LBB54_26
; %bb.25:
	s_waitcnt vmcnt(0)
	ds_read_u16 v8, v15 offset:1026
.LBB54_26:
	s_or_b64 exec, exec, s[0:1]
	v_cmp_eq_u16_sdwa s[0:1], v5, v4 src0_sel:DWORD src1_sel:WORD_1
	v_cmp_eq_u16_e32 vcc, v6, v5
	v_cndmask_b32_e64 v5, 0, 1, s[0:1]
	v_cmp_eq_u16_sdwa s[0:1], v4, v4 src0_sel:WORD_1 src1_sel:DWORD
	v_cndmask_b32_e64 v15, 0, 1, s[0:1]
	v_cmp_eq_u16_sdwa s[0:1], v4, v3 src0_sel:DWORD src1_sel:WORD_1
	v_cndmask_b32_e64 v4, 0, 1, s[0:1]
	v_cmp_eq_u16_sdwa s[0:1], v3, v3 src0_sel:WORD_1 src1_sel:DWORD
	v_cndmask_b32_e64 v0, 0, 1, vcc
	v_cndmask_b32_e64 v9, 0, 1, s[0:1]
	v_cmp_eq_u16_sdwa s[0:1], v3, v2 src0_sel:DWORD src1_sel:WORD_1
	s_waitcnt vmcnt(1)
	v_cmp_eq_u16_e32 vcc, v2, v7
	v_cndmask_b32_e64 v3, 0, 1, s[0:1]
	v_cmp_eq_u16_sdwa s[0:1], v2, v2 src0_sel:WORD_1 src1_sel:DWORD
	v_cndmask_b32_e64 v2, 0, 1, vcc
	s_waitcnt vmcnt(0) lgkmcnt(0)
	v_cmp_eq_u16_e32 vcc, v8, v6
	v_cndmask_b32_e64 v11, 0, 1, s[0:1]
	v_cndmask_b32_e64 v6, 0, 1, vcc
	s_mov_b32 s0, 0x5040100
	v_perm_b32 v14, v3, v11, s0
	v_perm_b32 v13, v4, v9, s0
	;; [unrolled: 1-line block ×8, first 2 shown]
.LBB54_27:
	s_lshl_b64 s[0:1], s[4:5], 3
	v_lshrrev_b32_e32 v2, 16, v11
	s_add_u32 s4, s10, s0
	v_bfe_i32 v0, v11, 0, 16
	v_bfe_i32 v2, v2, 0, 16
	s_addc_u32 s5, s11, s1
	v_lshlrev_b32_e32 v4, 3, v1
	v_ashrrev_i32_e32 v1, 31, v0
	v_ashrrev_i32_e32 v3, 31, v2
	global_store_dwordx4 v4, v[0:3], s[4:5]
	s_add_u32 s0, s2, s0
	v_lshrrev_b32_e32 v2, 16, v9
	v_bfe_i32 v0, v9, 0, 16
	v_bfe_i32 v2, v2, 0, 16
	v_ashrrev_i32_e32 v1, 31, v0
	v_ashrrev_i32_e32 v3, 31, v2
	global_store_dwordx4 v4, v[0:3], s[4:5] offset:16
	s_addc_u32 s1, s3, s1
	v_lshrrev_b32_e32 v2, 16, v8
	v_bfe_i32 v0, v8, 0, 16
	v_bfe_i32 v2, v2, 0, 16
	v_ashrrev_i32_e32 v1, 31, v0
	v_ashrrev_i32_e32 v3, 31, v2
	global_store_dwordx4 v4, v[0:3], s[4:5] offset:32
	s_nop 0
	v_lshrrev_b32_e32 v2, 16, v7
	v_bfe_i32 v0, v7, 0, 16
	v_bfe_i32 v2, v2, 0, 16
	v_ashrrev_i32_e32 v1, 31, v0
	v_ashrrev_i32_e32 v3, 31, v2
	global_store_dwordx4 v4, v[0:3], s[4:5] offset:48
	s_nop 0
	v_lshrrev_b32_e32 v2, 16, v14
	v_bfe_i32 v0, v14, 0, 16
	v_bfe_i32 v2, v2, 0, 16
	v_ashrrev_i32_e32 v1, 31, v0
	v_ashrrev_i32_e32 v3, 31, v2
	global_store_dwordx4 v4, v[0:3], s[0:1]
	s_nop 0
	v_lshrrev_b32_e32 v2, 16, v13
	v_bfe_i32 v0, v13, 0, 16
	v_bfe_i32 v2, v2, 0, 16
	v_ashrrev_i32_e32 v1, 31, v0
	v_ashrrev_i32_e32 v3, 31, v2
	global_store_dwordx4 v4, v[0:3], s[0:1] offset:16
	s_nop 0
	v_lshrrev_b32_e32 v2, 16, v12
	v_bfe_i32 v0, v12, 0, 16
	v_bfe_i32 v2, v2, 0, 16
	v_ashrrev_i32_e32 v1, 31, v0
	v_ashrrev_i32_e32 v3, 31, v2
	global_store_dwordx4 v4, v[0:3], s[0:1] offset:32
	;; [unrolled: 7-line block ×3, first 2 shown]
	s_endpgm
	.section	.rodata,"a",@progbits
	.p2align	6, 0x0
	.amdhsa_kernel _Z27flag_heads_and_tails_kernelIssN6hipcub8EqualityELj512ELj8EEvPT_PxS4_
		.amdhsa_group_segment_fixed_size 2048
		.amdhsa_private_segment_fixed_size 0
		.amdhsa_kernarg_size 24
		.amdhsa_user_sgpr_count 6
		.amdhsa_user_sgpr_private_segment_buffer 1
		.amdhsa_user_sgpr_dispatch_ptr 0
		.amdhsa_user_sgpr_queue_ptr 0
		.amdhsa_user_sgpr_kernarg_segment_ptr 1
		.amdhsa_user_sgpr_dispatch_id 0
		.amdhsa_user_sgpr_flat_scratch_init 0
		.amdhsa_user_sgpr_kernarg_preload_length 0
		.amdhsa_user_sgpr_kernarg_preload_offset 0
		.amdhsa_user_sgpr_private_segment_size 0
		.amdhsa_uses_dynamic_stack 0
		.amdhsa_system_sgpr_private_segment_wavefront_offset 0
		.amdhsa_system_sgpr_workgroup_id_x 1
		.amdhsa_system_sgpr_workgroup_id_y 0
		.amdhsa_system_sgpr_workgroup_id_z 0
		.amdhsa_system_sgpr_workgroup_info 0
		.amdhsa_system_vgpr_workitem_id 0
		.amdhsa_next_free_vgpr 21
		.amdhsa_next_free_sgpr 24
		.amdhsa_accum_offset 24
		.amdhsa_reserve_vcc 1
		.amdhsa_reserve_flat_scratch 0
		.amdhsa_float_round_mode_32 0
		.amdhsa_float_round_mode_16_64 0
		.amdhsa_float_denorm_mode_32 3
		.amdhsa_float_denorm_mode_16_64 3
		.amdhsa_dx10_clamp 1
		.amdhsa_ieee_mode 1
		.amdhsa_fp16_overflow 0
		.amdhsa_tg_split 0
		.amdhsa_exception_fp_ieee_invalid_op 0
		.amdhsa_exception_fp_denorm_src 0
		.amdhsa_exception_fp_ieee_div_zero 0
		.amdhsa_exception_fp_ieee_overflow 0
		.amdhsa_exception_fp_ieee_underflow 0
		.amdhsa_exception_fp_ieee_inexact 0
		.amdhsa_exception_int_div_zero 0
	.end_amdhsa_kernel
	.section	.text._Z27flag_heads_and_tails_kernelIssN6hipcub8EqualityELj512ELj8EEvPT_PxS4_,"axG",@progbits,_Z27flag_heads_and_tails_kernelIssN6hipcub8EqualityELj512ELj8EEvPT_PxS4_,comdat
.Lfunc_end54:
	.size	_Z27flag_heads_and_tails_kernelIssN6hipcub8EqualityELj512ELj8EEvPT_PxS4_, .Lfunc_end54-_Z27flag_heads_and_tails_kernelIssN6hipcub8EqualityELj512ELj8EEvPT_PxS4_
                                        ; -- End function
	.section	.AMDGPU.csdata,"",@progbits
; Kernel info:
; codeLenInByte = 1896
; NumSgprs: 28
; NumVgprs: 21
; NumAgprs: 0
; TotalNumVgprs: 21
; ScratchSize: 0
; MemoryBound: 0
; FloatMode: 240
; IeeeMode: 1
; LDSByteSize: 2048 bytes/workgroup (compile time only)
; SGPRBlocks: 3
; VGPRBlocks: 2
; NumSGPRsForWavesPerEU: 28
; NumVGPRsForWavesPerEU: 21
; AccumOffset: 24
; Occupancy: 8
; WaveLimiterHint : 0
; COMPUTE_PGM_RSRC2:SCRATCH_EN: 0
; COMPUTE_PGM_RSRC2:USER_SGPR: 6
; COMPUTE_PGM_RSRC2:TRAP_HANDLER: 0
; COMPUTE_PGM_RSRC2:TGID_X_EN: 1
; COMPUTE_PGM_RSRC2:TGID_Y_EN: 0
; COMPUTE_PGM_RSRC2:TGID_Z_EN: 0
; COMPUTE_PGM_RSRC2:TIDIG_COMP_CNT: 0
; COMPUTE_PGM_RSRC3_GFX90A:ACCUM_OFFSET: 5
; COMPUTE_PGM_RSRC3_GFX90A:TG_SPLIT: 0
	.section	.text._Z27flag_heads_and_tails_kernelIth15custom_flag_op2ItELj256ELj7EEvPT_PxS4_,"axG",@progbits,_Z27flag_heads_and_tails_kernelIth15custom_flag_op2ItELj256ELj7EEvPT_PxS4_,comdat
	.protected	_Z27flag_heads_and_tails_kernelIth15custom_flag_op2ItELj256ELj7EEvPT_PxS4_ ; -- Begin function _Z27flag_heads_and_tails_kernelIth15custom_flag_op2ItELj256ELj7EEvPT_PxS4_
	.globl	_Z27flag_heads_and_tails_kernelIth15custom_flag_op2ItELj256ELj7EEvPT_PxS4_
	.p2align	8
	.type	_Z27flag_heads_and_tails_kernelIth15custom_flag_op2ItELj256ELj7EEvPT_PxS4_,@function
_Z27flag_heads_and_tails_kernelIth15custom_flag_op2ItELj256ELj7EEvPT_PxS4_: ; @_Z27flag_heads_and_tails_kernelIth15custom_flag_op2ItELj256ELj7EEvPT_PxS4_
; %bb.0:
	s_load_dwordx4 s[8:11], s[4:5], 0x0
	s_load_dwordx2 s[12:13], s[4:5], 0x10
	s_mul_i32 s4, s6, 0x700
	s_mov_b32 s5, 0
	s_lshl_b64 s[0:1], s[4:5], 1
	s_waitcnt lgkmcnt(0)
	s_add_u32 s0, s8, s0
	v_mul_u32_u24_e32 v1, 7, v0
	s_addc_u32 s1, s9, s1
	v_lshlrev_b32_e32 v6, 1, v1
	global_load_ushort v5, v6, s[0:1] offset:12
	global_load_dwordx3 v[2:4], v6, s[0:1]
	s_and_b32 s6, s6, 3
	s_cmp_lt_i32 s6, 2
	s_cbranch_scc1 .LBB55_8
; %bb.1:
	s_cmp_gt_i32 s6, 2
	s_cbranch_scc0 .LBB55_9
; %bb.2:
	s_waitcnt vmcnt(1)
	v_and_b32_e32 v12, 0xffff, v5
	s_waitcnt vmcnt(0)
	v_sub_u32_sdwa v6, v12, v4 dst_sel:DWORD dst_unused:UNUSED_PAD src0_sel:DWORD src1_sel:WORD_1
	v_cmp_lt_i32_e32 vcc, 5, v6
	v_sub_u32_sdwa v6, v4, v4 dst_sel:DWORD dst_unused:UNUSED_PAD src0_sel:WORD_1 src1_sel:WORD_0
	v_cmp_lt_i32_e64 s[0:1], 5, v6
	v_sub_u32_sdwa v6, v4, v3 dst_sel:DWORD dst_unused:UNUSED_PAD src0_sel:WORD_0 src1_sel:WORD_1
	v_cndmask_b32_e64 v7, 0, 1, s[0:1]
	v_cmp_lt_i32_e64 s[0:1], 5, v6
	v_sub_u32_sdwa v9, v3, v3 dst_sel:DWORD dst_unused:UNUSED_PAD src0_sel:WORD_1 src1_sel:WORD_0
	v_and_b32_e32 v8, 0xffff, v2
	v_cndmask_b32_e64 v6, 0, 1, s[0:1]
	v_cmp_lt_i32_e64 s[0:1], 5, v9
	v_sub_u32_sdwa v10, v3, v2 dst_sel:DWORD dst_unused:UNUSED_PAD src0_sel:WORD_0 src1_sel:WORD_1
	v_cndmask_b32_e64 v9, 0, 1, s[0:1]
	v_cmp_lt_i32_e64 s[0:1], 5, v10
	v_sub_u32_sdwa v11, v2, v8 dst_sel:DWORD dst_unused:UNUSED_PAD src0_sel:WORD_1 src1_sel:DWORD
	v_cndmask_b32_e64 v10, 0, 1, s[0:1]
	v_cmp_lt_i32_e64 s[0:1], 5, v11
	v_cndmask_b32_e64 v14, 0, 1, s[0:1]
	v_lshlrev_b16_e32 v11, 8, v9
	v_lshlrev_b16_e32 v15, 8, v14
	v_or_b32_sdwa v11, v10, v11 dst_sel:WORD_1 dst_unused:UNUSED_PAD src0_sel:DWORD src1_sel:DWORD
	v_or_b32_e32 v15, 1, v15
	v_lshlrev_b32_e32 v13, 1, v0
	v_or_b32_sdwa v11, v15, v11 dst_sel:DWORD dst_unused:UNUSED_PAD src0_sel:WORD_0 src1_sel:DWORD
	v_cmp_ne_u32_e64 s[0:1], 0, v0
	ds_write_b16 v13, v5
	s_waitcnt lgkmcnt(0)
	s_barrier
	s_and_saveexec_b64 s[2:3], s[0:1]
	s_cbranch_execz .LBB55_4
; %bb.3:
	v_add_u32_e32 v15, -2, v13
	ds_read_u16 v15, v15
	v_mov_b32_e32 v16, 8
	v_lshrrev_b32_e32 v17, 24, v11
	v_lshrrev_b32_sdwa v16, v16, v11 dst_sel:BYTE_1 dst_unused:UNUSED_PAD src0_sel:DWORD src1_sel:DWORD
	s_waitcnt lgkmcnt(0)
	v_sub_u32_e32 v8, v8, v15
	v_cmp_lt_i32_e64 s[0:1], 5, v8
	v_cndmask_b32_e64 v8, 0, 1, s[0:1]
	s_movk_i32 s0, 0xff
	v_lshlrev_b16_e32 v15, 8, v17
	v_and_b32_sdwa v11, v11, s0 dst_sel:DWORD dst_unused:UNUSED_PAD src0_sel:WORD_1 src1_sel:DWORD
	v_or_b32_e32 v8, v8, v16
	v_or_b32_sdwa v11, v11, v15 dst_sel:WORD_1 dst_unused:UNUSED_PAD src0_sel:DWORD src1_sel:DWORD
	v_or_b32_sdwa v11, v8, v11 dst_sel:DWORD dst_unused:UNUSED_PAD src0_sel:WORD_0 src1_sel:DWORD
.LBB55_4:
	s_or_b64 exec, exec, s[2:3]
	v_lshlrev_b16_e32 v10, 8, v10
	v_or_b32_e32 v10, v14, v10
	v_lshlrev_b16_e32 v14, 8, v6
	v_or_b32_sdwa v9, v9, v14 dst_sel:WORD_1 dst_unused:UNUSED_PAD src0_sel:DWORD src1_sel:DWORD
	s_movk_i32 s0, 0xff
	v_cndmask_b32_e64 v8, 0, 1, vcc
	v_or_b32_sdwa v10, v10, v9 dst_sel:DWORD dst_unused:UNUSED_PAD src0_sel:WORD_0 src1_sel:DWORD
	v_cmp_ne_u32_e32 vcc, s0, v0
	v_mov_b32_e32 v9, 1
	ds_write_b16 v13, v2 offset:512
	s_waitcnt lgkmcnt(0)
	s_barrier
	s_and_saveexec_b64 s[0:1], vcc
	s_cbranch_execz .LBB55_6
; %bb.5:
	ds_read_u16 v9, v13 offset:514
	s_mov_b32 s2, 0x3020104
	v_perm_b32 v10, v10, v10, s2
	s_waitcnt lgkmcnt(0)
	v_sub_u32_e32 v9, v9, v12
	v_cmp_lt_i32_e32 vcc, 5, v9
	v_cndmask_b32_e64 v9, 0, 1, vcc
.LBB55_6:
	s_or_b64 exec, exec, s[0:1]
.LBB55_7:
	s_cbranch_execz .LBB55_15
	s_branch .LBB55_27
.LBB55_8:
                                        ; implicit-def: $vgpr6
                                        ; implicit-def: $vgpr11
                                        ; implicit-def: $vgpr9
                                        ; implicit-def: $vgpr8
                                        ; implicit-def: $vgpr7
                                        ; implicit-def: $vgpr10
	s_branch .LBB55_15
.LBB55_9:
                                        ; implicit-def: $vgpr6
                                        ; implicit-def: $vgpr11
                                        ; implicit-def: $vgpr9
                                        ; implicit-def: $vgpr8
                                        ; implicit-def: $vgpr7
                                        ; implicit-def: $vgpr10
	s_cbranch_execz .LBB55_7
; %bb.10:
	s_add_i32 s0, s4, -1
	s_mov_b32 s1, 0
	s_lshl_b64 s[0:1], s[0:1], 1
	s_add_u32 s0, s8, s0
	s_addc_u32 s1, s9, s1
	v_mov_b32_e32 v6, 0
	global_load_ushort v9, v6, s[0:1]
	v_lshlrev_b32_e32 v11, 1, v0
	v_cmp_ne_u32_e32 vcc, 0, v0
	s_waitcnt vmcnt(2)
	ds_write_b16 v11, v5
	s_waitcnt lgkmcnt(0)
	s_barrier
	s_and_saveexec_b64 s[0:1], vcc
	s_cbranch_execz .LBB55_12
; %bb.11:
	v_add_u32_e32 v6, -2, v11
	s_waitcnt vmcnt(0)
	ds_read_u16 v9, v6
.LBB55_12:
	s_or_b64 exec, exec, s[0:1]
	v_and_b32_e32 v12, 0xffff, v5
	s_waitcnt vmcnt(1)
	v_sub_u32_sdwa v6, v12, v4 dst_sel:DWORD dst_unused:UNUSED_PAD src0_sel:DWORD src1_sel:WORD_1
	v_cmp_lt_i32_e32 vcc, 5, v6
	v_sub_u32_sdwa v6, v4, v4 dst_sel:DWORD dst_unused:UNUSED_PAD src0_sel:WORD_1 src1_sel:WORD_0
	v_cndmask_b32_e64 v8, 0, 1, vcc
	v_cmp_lt_i32_e32 vcc, 5, v6
	v_sub_u32_sdwa v6, v4, v3 dst_sel:DWORD dst_unused:UNUSED_PAD src0_sel:WORD_0 src1_sel:WORD_1
	v_cndmask_b32_e64 v7, 0, 1, vcc
	v_cmp_lt_i32_e32 vcc, 5, v6
	v_sub_u32_sdwa v13, v3, v3 dst_sel:DWORD dst_unused:UNUSED_PAD src0_sel:WORD_1 src1_sel:WORD_0
	v_and_b32_e32 v10, 0xffff, v2
	v_cndmask_b32_e64 v6, 0, 1, vcc
	v_cmp_lt_i32_e32 vcc, 5, v13
	v_sub_u32_sdwa v14, v3, v2 dst_sel:DWORD dst_unused:UNUSED_PAD src0_sel:WORD_0 src1_sel:WORD_1
	v_cndmask_b32_e64 v13, 0, 1, vcc
	v_cmp_lt_i32_e32 vcc, 5, v14
	v_sub_u32_sdwa v15, v2, v10 dst_sel:DWORD dst_unused:UNUSED_PAD src0_sel:WORD_1 src1_sel:DWORD
	v_cndmask_b32_e64 v14, 0, 1, vcc
	v_cmp_lt_i32_e32 vcc, 5, v15
	s_waitcnt vmcnt(0) lgkmcnt(0)
	v_sub_u32_sdwa v9, v10, v9 dst_sel:DWORD dst_unused:UNUSED_PAD src0_sel:DWORD src1_sel:WORD_0
	v_lshlrev_b16_e32 v16, 8, v6
	v_cndmask_b32_e64 v15, 0, 1, vcc
	v_cmp_lt_i32_e32 vcc, 5, v9
	v_lshlrev_b16_e32 v10, 8, v14
	v_or_b32_sdwa v16, v13, v16 dst_sel:WORD_1 dst_unused:UNUSED_PAD src0_sel:DWORD src1_sel:DWORD
	v_lshlrev_b16_e32 v13, 8, v13
	v_cndmask_b32_e64 v9, 0, 1, vcc
	v_or_b32_e32 v10, v15, v10
	s_movk_i32 s0, 0xff
	v_or_b32_sdwa v13, v14, v13 dst_sel:WORD_1 dst_unused:UNUSED_PAD src0_sel:DWORD src1_sel:DWORD
	v_lshlrev_b16_e32 v14, 8, v15
	v_or_b32_sdwa v10, v10, v16 dst_sel:DWORD dst_unused:UNUSED_PAD src0_sel:WORD_0 src1_sel:DWORD
	v_cmp_ne_u32_e32 vcc, s0, v0
	v_or_b32_e32 v14, v9, v14
	v_mov_b32_e32 v9, 1
	ds_write_b16 v11, v2 offset:512
	s_waitcnt lgkmcnt(0)
	s_barrier
	s_and_saveexec_b64 s[0:1], vcc
	s_cbranch_execz .LBB55_14
; %bb.13:
	ds_read_u16 v9, v11 offset:514
	s_mov_b32 s2, 0x3020104
	v_perm_b32 v10, v10, v10, s2
	s_waitcnt lgkmcnt(0)
	v_sub_u32_e32 v9, v9, v12
	v_cmp_lt_i32_e32 vcc, 5, v9
	v_cndmask_b32_e64 v9, 0, 1, vcc
.LBB55_14:
	s_or_b64 exec, exec, s[0:1]
	v_or_b32_sdwa v11, v14, v13 dst_sel:DWORD dst_unused:UNUSED_PAD src0_sel:WORD_0 src1_sel:DWORD
	s_cbranch_execnz .LBB55_27
.LBB55_15:
	s_cmp_eq_u32 s6, 1
	v_lshlrev_b32_e32 v15, 1, v0
	s_waitcnt vmcnt(0)
	v_sub_u32_sdwa v14, v4, v4 dst_sel:DWORD dst_unused:UNUSED_PAD src0_sel:WORD_1 src1_sel:WORD_0
	v_sub_u32_sdwa v13, v4, v3 dst_sel:DWORD dst_unused:UNUSED_PAD src0_sel:WORD_0 src1_sel:WORD_1
	v_sub_u32_sdwa v12, v3, v3 dst_sel:DWORD dst_unused:UNUSED_PAD src0_sel:WORD_1 src1_sel:WORD_0
	v_sub_u32_sdwa v3, v3, v2 dst_sel:DWORD dst_unused:UNUSED_PAD src0_sel:WORD_0 src1_sel:WORD_1
	v_cmp_ne_u32_e64 s[0:1], 0, v0
	s_cbranch_scc1 .LBB55_21
; %bb.16:
	s_add_i32 s2, s4, 0x700
	s_mov_b32 s3, 0
	s_lshl_b64 s[2:3], s[2:3], 1
	s_add_u32 s2, s8, s2
	s_addc_u32 s3, s9, s3
	v_mov_b32_e32 v6, 0
	global_load_ushort v9, v6, s[2:3]
	v_and_b32_e32 v10, 0xffff, v5
	v_cmp_lt_i32_e64 s[2:3], 5, v14
	v_sub_u32_sdwa v6, v10, v4 dst_sel:DWORD dst_unused:UNUSED_PAD src0_sel:DWORD src1_sel:WORD_1
	v_cndmask_b32_e64 v7, 0, 1, s[2:3]
	v_cmp_lt_i32_e64 s[2:3], 5, v13
	v_and_b32_e32 v8, 0xffff, v2
	v_cmp_lt_i32_e32 vcc, 5, v6
	v_cndmask_b32_e64 v6, 0, 1, s[2:3]
	v_cmp_lt_i32_e64 s[2:3], 5, v12
	v_cndmask_b32_e64 v11, 0, 1, s[2:3]
	v_cmp_lt_i32_e64 s[2:3], 5, v3
	v_sub_u32_sdwa v17, v2, v8 dst_sel:DWORD dst_unused:UNUSED_PAD src0_sel:WORD_1 src1_sel:DWORD
	v_cndmask_b32_e64 v16, 0, 1, s[2:3]
	v_cmp_lt_i32_e64 s[2:3], 5, v17
	v_cndmask_b32_e64 v17, 0, 1, s[2:3]
	v_lshlrev_b16_e32 v18, 8, v11
	v_lshlrev_b16_e32 v19, 8, v17
	v_or_b32_sdwa v18, v16, v18 dst_sel:WORD_1 dst_unused:UNUSED_PAD src0_sel:DWORD src1_sel:DWORD
	v_or_b32_e32 v19, 1, v19
	v_or_b32_sdwa v18, v19, v18 dst_sel:DWORD dst_unused:UNUSED_PAD src0_sel:WORD_0 src1_sel:DWORD
	ds_write_b16 v15, v5
	s_waitcnt lgkmcnt(0)
	s_barrier
	s_and_saveexec_b64 s[2:3], s[0:1]
	s_cbranch_execz .LBB55_18
; %bb.17:
	v_add_u32_e32 v19, -2, v15
	ds_read_u16 v19, v19
	v_mov_b32_e32 v20, 8
	v_lshrrev_b32_e32 v21, 24, v18
	v_lshrrev_b32_sdwa v20, v20, v18 dst_sel:BYTE_1 dst_unused:UNUSED_PAD src0_sel:DWORD src1_sel:DWORD
	s_waitcnt lgkmcnt(0)
	v_sub_u32_e32 v8, v8, v19
	v_cmp_lt_i32_e64 s[0:1], 5, v8
	v_cndmask_b32_e64 v8, 0, 1, s[0:1]
	s_movk_i32 s0, 0xff
	v_lshlrev_b16_e32 v19, 8, v21
	v_and_b32_sdwa v18, v18, s0 dst_sel:DWORD dst_unused:UNUSED_PAD src0_sel:WORD_1 src1_sel:DWORD
	v_or_b32_e32 v8, v8, v20
	v_or_b32_sdwa v18, v18, v19 dst_sel:WORD_1 dst_unused:UNUSED_PAD src0_sel:DWORD src1_sel:DWORD
	v_or_b32_sdwa v18, v8, v18 dst_sel:DWORD dst_unused:UNUSED_PAD src0_sel:WORD_0 src1_sel:DWORD
.LBB55_18:
	s_or_b64 exec, exec, s[2:3]
	s_movk_i32 s0, 0xff
	v_cmp_ne_u32_e64 s[0:1], s0, v0
	ds_write_b16 v15, v2 offset:512
	s_waitcnt lgkmcnt(0)
	s_barrier
	s_and_saveexec_b64 s[2:3], s[0:1]
	s_cbranch_execz .LBB55_20
; %bb.19:
	s_waitcnt vmcnt(0)
	ds_read_u16 v9, v15 offset:514
.LBB55_20:
	s_or_b64 exec, exec, s[2:3]
	s_waitcnt vmcnt(0) lgkmcnt(0)
	v_sub_u32_sdwa v9, v9, v10 dst_sel:DWORD dst_unused:UNUSED_PAD src0_sel:WORD_0 src1_sel:DWORD
	v_lshlrev_b16_e32 v10, 8, v16
	v_lshlrev_b16_e32 v16, 8, v6
	v_cndmask_b32_e64 v8, 0, 1, vcc
	v_cmp_lt_i32_e32 vcc, 5, v9
	v_or_b32_e32 v10, v17, v10
	v_or_b32_sdwa v11, v11, v16 dst_sel:WORD_1 dst_unused:UNUSED_PAD src0_sel:DWORD src1_sel:DWORD
	s_mov_b32 s0, 0x3020104
	v_cndmask_b32_e64 v9, 0, 1, vcc
	v_or_b32_sdwa v10, v10, v11 dst_sel:DWORD dst_unused:UNUSED_PAD src0_sel:WORD_0 src1_sel:DWORD
	v_perm_b32 v11, v18, v18, s0
	s_branch .LBB55_27
.LBB55_21:
                                        ; implicit-def: $vgpr6
                                        ; implicit-def: $vgpr11
                                        ; implicit-def: $vgpr9
                                        ; implicit-def: $vgpr8
                                        ; implicit-def: $vgpr7
                                        ; implicit-def: $vgpr10
	s_cbranch_execz .LBB55_27
; %bb.22:
	s_add_i32 s0, s4, -1
	s_mov_b32 s1, 0
	s_lshl_b64 s[2:3], s[0:1], 1
	s_add_u32 s2, s8, s2
	s_addc_u32 s3, s9, s3
	s_add_i32 s0, s4, 0x700
	s_lshl_b64 s[0:1], s[0:1], 1
	v_mov_b32_e32 v6, 0
	s_add_u32 s0, s8, s0
	s_addc_u32 s1, s9, s1
	global_load_ushort v10, v6, s[2:3]
	global_load_ushort v9, v6, s[0:1]
	v_cmp_ne_u32_e32 vcc, 0, v0
	ds_write_b16 v15, v5
	s_waitcnt lgkmcnt(0)
	s_barrier
	s_and_saveexec_b64 s[0:1], vcc
	s_cbranch_execz .LBB55_24
; %bb.23:
	v_add_u32_e32 v6, -2, v15
	s_waitcnt vmcnt(1)
	ds_read_u16 v10, v6
.LBB55_24:
	s_or_b64 exec, exec, s[0:1]
	s_movk_i32 s0, 0xff
	v_cmp_ne_u32_e32 vcc, s0, v0
	ds_write_b16 v15, v2 offset:512
	s_waitcnt lgkmcnt(0)
	s_barrier
	s_and_saveexec_b64 s[0:1], vcc
	s_cbranch_execz .LBB55_26
; %bb.25:
	s_waitcnt vmcnt(0)
	ds_read_u16 v9, v15 offset:514
.LBB55_26:
	s_or_b64 exec, exec, s[0:1]
	v_and_b32_e32 v5, 0xffff, v5
	v_sub_u32_sdwa v4, v5, v4 dst_sel:DWORD dst_unused:UNUSED_PAD src0_sel:DWORD src1_sel:WORD_1
	v_cmp_lt_i32_e32 vcc, 5, v4
	v_cndmask_b32_e64 v8, 0, 1, vcc
	v_cmp_lt_i32_e32 vcc, 5, v14
	v_cndmask_b32_e64 v7, 0, 1, vcc
	v_cmp_lt_i32_e32 vcc, 5, v13
	v_and_b32_e32 v0, 0xffff, v2
	v_cndmask_b32_e64 v6, 0, 1, vcc
	v_cmp_lt_i32_e32 vcc, 5, v12
	v_cndmask_b32_e64 v4, 0, 1, vcc
	v_cmp_lt_i32_e32 vcc, 5, v3
	v_sub_u32_sdwa v2, v2, v0 dst_sel:DWORD dst_unused:UNUSED_PAD src0_sel:WORD_1 src1_sel:DWORD
	v_cndmask_b32_e64 v3, 0, 1, vcc
	v_cmp_lt_i32_e32 vcc, 5, v2
	s_waitcnt vmcnt(1)
	v_sub_u32_sdwa v0, v0, v10 dst_sel:DWORD dst_unused:UNUSED_PAD src0_sel:DWORD src1_sel:WORD_0
	v_cndmask_b32_e64 v2, 0, 1, vcc
	v_cmp_lt_i32_e32 vcc, 5, v0
	s_waitcnt vmcnt(0) lgkmcnt(0)
	v_sub_u32_sdwa v5, v9, v5 dst_sel:DWORD dst_unused:UNUSED_PAD src0_sel:WORD_0 src1_sel:DWORD
	v_cndmask_b32_e64 v0, 0, 1, vcc
	v_cmp_lt_i32_e32 vcc, 5, v5
	v_lshlrev_b16_e32 v5, 8, v3
	v_lshlrev_b16_e32 v10, 8, v6
	v_or_b32_e32 v5, v2, v5
	v_or_b32_sdwa v10, v4, v10 dst_sel:WORD_1 dst_unused:UNUSED_PAD src0_sel:DWORD src1_sel:DWORD
	v_lshlrev_b16_e32 v4, 8, v4
	v_lshlrev_b16_e32 v2, 8, v2
	v_or_b32_sdwa v3, v3, v4 dst_sel:WORD_1 dst_unused:UNUSED_PAD src0_sel:DWORD src1_sel:DWORD
	v_or_b32_e32 v0, v0, v2
	v_cndmask_b32_e64 v9, 0, 1, vcc
	v_or_b32_sdwa v10, v5, v10 dst_sel:DWORD dst_unused:UNUSED_PAD src0_sel:WORD_0 src1_sel:DWORD
	v_or_b32_sdwa v11, v0, v3 dst_sel:DWORD dst_unused:UNUSED_PAD src0_sel:WORD_0 src1_sel:DWORD
.LBB55_27:
	s_lshl_b64 s[0:1], s[4:5], 3
	s_add_u32 s2, s10, s0
	v_lshlrev_b32_e32 v12, 3, v1
	v_mov_b32_e32 v1, 0
	s_addc_u32 s3, s11, s1
	v_and_b32_e32 v0, 0xff, v11
	s_waitcnt vmcnt(0)
	v_bfe_u32 v2, v11, 8, 8
	v_mov_b32_e32 v3, v1
	global_store_dwordx4 v12, v[0:3], s[2:3]
	s_add_u32 s0, s12, s0
	v_lshrrev_b32_e32 v2, 24, v11
	v_bfe_u32 v0, v11, 16, 8
	global_store_dwordx4 v12, v[0:3], s[2:3] offset:16
	s_addc_u32 s1, s13, s1
	v_and_b32_e32 v0, 0xff, v6
	v_and_b32_e32 v2, 0xff, v7
	global_store_dwordx4 v12, v[0:3], s[2:3] offset:32
	v_and_b32_e32 v4, 0xff, v10
	v_and_b32_e32 v0, 0xff, v8
	v_bfe_u32 v6, v10, 8, 8
	v_mov_b32_e32 v5, v1
	v_mov_b32_e32 v7, v1
	global_store_dwordx2 v12, v[0:1], s[2:3] offset:48
	global_store_dwordx4 v12, v[4:7], s[0:1]
	s_nop 0
	v_lshrrev_b32_e32 v6, 24, v10
	v_bfe_u32 v4, v10, 16, 8
	global_store_dwordx4 v12, v[4:7], s[0:1] offset:16
	s_nop 0
	v_mov_b32_e32 v4, v0
	v_and_b32_e32 v0, 0xff, v9
	global_store_dwordx4 v12, v[2:5], s[0:1] offset:32
	global_store_dwordx2 v12, v[0:1], s[0:1] offset:48
	s_endpgm
	.section	.rodata,"a",@progbits
	.p2align	6, 0x0
	.amdhsa_kernel _Z27flag_heads_and_tails_kernelIth15custom_flag_op2ItELj256ELj7EEvPT_PxS4_
		.amdhsa_group_segment_fixed_size 1024
		.amdhsa_private_segment_fixed_size 0
		.amdhsa_kernarg_size 24
		.amdhsa_user_sgpr_count 6
		.amdhsa_user_sgpr_private_segment_buffer 1
		.amdhsa_user_sgpr_dispatch_ptr 0
		.amdhsa_user_sgpr_queue_ptr 0
		.amdhsa_user_sgpr_kernarg_segment_ptr 1
		.amdhsa_user_sgpr_dispatch_id 0
		.amdhsa_user_sgpr_flat_scratch_init 0
		.amdhsa_user_sgpr_kernarg_preload_length 0
		.amdhsa_user_sgpr_kernarg_preload_offset 0
		.amdhsa_user_sgpr_private_segment_size 0
		.amdhsa_uses_dynamic_stack 0
		.amdhsa_system_sgpr_private_segment_wavefront_offset 0
		.amdhsa_system_sgpr_workgroup_id_x 1
		.amdhsa_system_sgpr_workgroup_id_y 0
		.amdhsa_system_sgpr_workgroup_id_z 0
		.amdhsa_system_sgpr_workgroup_info 0
		.amdhsa_system_vgpr_workitem_id 0
		.amdhsa_next_free_vgpr 22
		.amdhsa_next_free_sgpr 14
		.amdhsa_accum_offset 24
		.amdhsa_reserve_vcc 1
		.amdhsa_reserve_flat_scratch 0
		.amdhsa_float_round_mode_32 0
		.amdhsa_float_round_mode_16_64 0
		.amdhsa_float_denorm_mode_32 3
		.amdhsa_float_denorm_mode_16_64 3
		.amdhsa_dx10_clamp 1
		.amdhsa_ieee_mode 1
		.amdhsa_fp16_overflow 0
		.amdhsa_tg_split 0
		.amdhsa_exception_fp_ieee_invalid_op 0
		.amdhsa_exception_fp_denorm_src 0
		.amdhsa_exception_fp_ieee_div_zero 0
		.amdhsa_exception_fp_ieee_overflow 0
		.amdhsa_exception_fp_ieee_underflow 0
		.amdhsa_exception_fp_ieee_inexact 0
		.amdhsa_exception_int_div_zero 0
	.end_amdhsa_kernel
	.section	.text._Z27flag_heads_and_tails_kernelIth15custom_flag_op2ItELj256ELj7EEvPT_PxS4_,"axG",@progbits,_Z27flag_heads_and_tails_kernelIth15custom_flag_op2ItELj256ELj7EEvPT_PxS4_,comdat
.Lfunc_end55:
	.size	_Z27flag_heads_and_tails_kernelIth15custom_flag_op2ItELj256ELj7EEvPT_PxS4_, .Lfunc_end55-_Z27flag_heads_and_tails_kernelIth15custom_flag_op2ItELj256ELj7EEvPT_PxS4_
                                        ; -- End function
	.section	.AMDGPU.csdata,"",@progbits
; Kernel info:
; codeLenInByte = 1996
; NumSgprs: 18
; NumVgprs: 22
; NumAgprs: 0
; TotalNumVgprs: 22
; ScratchSize: 0
; MemoryBound: 0
; FloatMode: 240
; IeeeMode: 1
; LDSByteSize: 1024 bytes/workgroup (compile time only)
; SGPRBlocks: 2
; VGPRBlocks: 2
; NumSGPRsForWavesPerEU: 18
; NumVGPRsForWavesPerEU: 22
; AccumOffset: 24
; Occupancy: 8
; WaveLimiterHint : 0
; COMPUTE_PGM_RSRC2:SCRATCH_EN: 0
; COMPUTE_PGM_RSRC2:USER_SGPR: 6
; COMPUTE_PGM_RSRC2:TRAP_HANDLER: 0
; COMPUTE_PGM_RSRC2:TGID_X_EN: 1
; COMPUTE_PGM_RSRC2:TGID_Y_EN: 0
; COMPUTE_PGM_RSRC2:TGID_Z_EN: 0
; COMPUTE_PGM_RSRC2:TIDIG_COMP_CNT: 0
; COMPUTE_PGM_RSRC3_GFX90A:ACCUM_OFFSET: 5
; COMPUTE_PGM_RSRC3_GFX90A:TG_SPLIT: 0
	.section	.text._Z27flag_heads_and_tails_kernelIisN10test_utils4lessELj128ELj4EEvPT_PxS4_,"axG",@progbits,_Z27flag_heads_and_tails_kernelIisN10test_utils4lessELj128ELj4EEvPT_PxS4_,comdat
	.protected	_Z27flag_heads_and_tails_kernelIisN10test_utils4lessELj128ELj4EEvPT_PxS4_ ; -- Begin function _Z27flag_heads_and_tails_kernelIisN10test_utils4lessELj128ELj4EEvPT_PxS4_
	.globl	_Z27flag_heads_and_tails_kernelIisN10test_utils4lessELj128ELj4EEvPT_PxS4_
	.p2align	8
	.type	_Z27flag_heads_and_tails_kernelIisN10test_utils4lessELj128ELj4EEvPT_PxS4_,@function
_Z27flag_heads_and_tails_kernelIisN10test_utils4lessELj128ELj4EEvPT_PxS4_: ; @_Z27flag_heads_and_tails_kernelIisN10test_utils4lessELj128ELj4EEvPT_PxS4_
; %bb.0:
	s_load_dwordx4 s[8:11], s[4:5], 0x0
	s_load_dwordx2 s[12:13], s[4:5], 0x10
	s_lshl_b32 s14, s6, 9
	s_mov_b32 s15, 0
	s_lshl_b64 s[0:1], s[14:15], 2
	s_waitcnt lgkmcnt(0)
	s_add_u32 s0, s8, s0
	s_addc_u32 s1, s9, s1
	v_lshlrev_b32_e32 v1, 4, v0
	global_load_dwordx4 v[2:5], v1, s[0:1]
	s_and_b32 s2, s6, 3
	s_cmp_lt_i32 s2, 2
	v_lshlrev_b32_e32 v1, 2, v0
	s_cbranch_scc1 .LBB56_8
; %bb.1:
	s_cmp_gt_i32 s2, 2
	s_cbranch_scc0 .LBB56_9
; %bb.2:
	s_waitcnt vmcnt(0)
	v_cmp_lt_i32_e32 vcc, v5, v4
	v_cndmask_b32_e64 v9, 0, 1, vcc
	v_cmp_lt_i32_e32 vcc, v3, v2
	v_cndmask_b32_e64 v7, 0, 1, vcc
	;; [unrolled: 2-line block ×3, first 2 shown]
	s_mov_b32 s3, 0x5040100
	v_mov_b32_e32 v10, 0x5040100
	v_perm_b32 v6, v11, v7, s3
	v_perm_b32 v8, v7, 1, v10
	;; [unrolled: 1-line block ×3, first 2 shown]
	v_cmp_ne_u32_e32 vcc, 0, v0
	ds_write_b32 v1, v5
	s_waitcnt lgkmcnt(0)
	s_barrier
	s_and_saveexec_b64 s[0:1], vcc
	s_cbranch_execz .LBB56_4
; %bb.3:
	v_add_u32_e32 v11, -4, v1
	ds_read_b32 v11, v11
	s_mov_b32 s4, 0xffff
	s_waitcnt lgkmcnt(0)
	v_cmp_lt_i32_e32 vcc, v2, v11
	v_cndmask_b32_e64 v11, 0, 1, vcc
	v_bfi_b32 v8, s4, v11, v8
.LBB56_4:
	s_or_b64 exec, exec, s[0:1]
	s_movk_i32 s0, 0x7f
	v_perm_b32 v9, 1, v9, v10
	v_cmp_ne_u32_e32 vcc, s0, v0
	ds_write_b32 v1, v2 offset:512
	s_waitcnt lgkmcnt(0)
	s_barrier
	s_and_saveexec_b64 s[0:1], vcc
	s_cbranch_execz .LBB56_6
; %bb.5:
	ds_read_b32 v10, v1 offset:516
	s_waitcnt lgkmcnt(0)
	v_cmp_lt_i32_e32 vcc, v10, v5
	v_cndmask_b32_e64 v10, 0, 1, vcc
	v_perm_b32 v9, v10, v9, s3
.LBB56_6:
	s_or_b64 exec, exec, s[0:1]
.LBB56_7:
	s_cbranch_execz .LBB56_15
	s_branch .LBB56_27
.LBB56_8:
                                        ; implicit-def: $vgpr7
                                        ; implicit-def: $vgpr8
                                        ; implicit-def: $vgpr9
                                        ; implicit-def: $vgpr6
	s_branch .LBB56_15
.LBB56_9:
                                        ; implicit-def: $vgpr7
                                        ; implicit-def: $vgpr8
                                        ; implicit-def: $vgpr9
                                        ; implicit-def: $vgpr6
	s_cbranch_execz .LBB56_7
; %bb.10:
	s_add_i32 s0, s14, -1
	s_mov_b32 s1, 0
	s_lshl_b64 s[0:1], s[0:1], 2
	s_add_u32 s0, s8, s0
	s_addc_u32 s1, s9, s1
	s_load_dword s0, s[0:1], 0x0
	v_cmp_ne_u32_e32 vcc, 0, v0
	s_waitcnt vmcnt(0)
	ds_write_b32 v1, v5
	s_waitcnt lgkmcnt(0)
	s_barrier
	v_mov_b32_e32 v6, s0
	s_and_saveexec_b64 s[0:1], vcc
	s_cbranch_execz .LBB56_12
; %bb.11:
	v_add_u32_e32 v6, -4, v1
	ds_read_b32 v6, v6
.LBB56_12:
	s_or_b64 exec, exec, s[0:1]
	v_cmp_lt_i32_e32 vcc, v5, v4
	v_cndmask_b32_e64 v7, 0, 1, vcc
	v_cmp_lt_i32_e32 vcc, v3, v2
	v_cndmask_b32_e64 v8, 0, 1, vcc
	;; [unrolled: 2-line block ×3, first 2 shown]
	s_waitcnt lgkmcnt(0)
	v_cmp_lt_i32_e32 vcc, v2, v6
	s_mov_b32 s3, 0x5040100
	v_mov_b32_e32 v9, 0x5040100
	s_movk_i32 s0, 0x7f
	v_cndmask_b32_e64 v11, 0, 1, vcc
	v_perm_b32 v6, v10, v8, s3
	v_perm_b32 v9, 1, v7, v9
	v_cmp_ne_u32_e32 vcc, s0, v0
	ds_write_b32 v1, v2 offset:512
	s_waitcnt lgkmcnt(0)
	s_barrier
	s_and_saveexec_b64 s[0:1], vcc
	s_cbranch_execz .LBB56_14
; %bb.13:
	ds_read_b32 v12, v1 offset:516
	s_waitcnt lgkmcnt(0)
	v_cmp_lt_i32_e32 vcc, v12, v5
	v_cndmask_b32_e64 v12, 0, 1, vcc
	v_perm_b32 v9, v12, v9, s3
.LBB56_14:
	s_or_b64 exec, exec, s[0:1]
	v_perm_b32 v8, v8, v11, s3
	v_perm_b32 v7, v7, v10, s3
	s_cbranch_execnz .LBB56_27
.LBB56_15:
	s_cmp_eq_u32 s2, 1
	s_waitcnt vmcnt(0)
	v_cmp_lt_i32_e64 s[2:3], v5, v4
	v_cmp_lt_i32_e64 s[0:1], v4, v3
	;; [unrolled: 1-line block ×3, first 2 shown]
	v_cmp_ne_u32_e32 vcc, 0, v0
	s_cbranch_scc1 .LBB56_21
; %bb.16:
	s_add_i32 s6, s14, 0x200
	s_mov_b32 s7, 0
	s_lshl_b64 s[6:7], s[6:7], 2
	s_add_u32 s6, s8, s6
	s_addc_u32 s7, s9, s7
	s_load_dword s6, s[6:7], 0x0
	v_cndmask_b32_e64 v9, 0, 1, s[2:3]
	v_cndmask_b32_e64 v7, 0, 1, s[4:5]
	;; [unrolled: 1-line block ×3, first 2 shown]
	s_mov_b32 s0, 0x5040100
	v_mov_b32_e32 v8, 0x5040100
	v_perm_b32 v6, v10, v7, s0
	v_perm_b32 v8, v7, 1, v8
	;; [unrolled: 1-line block ×3, first 2 shown]
	ds_write_b32 v1, v5
	s_waitcnt lgkmcnt(0)
	s_barrier
	s_and_saveexec_b64 s[0:1], vcc
	s_cbranch_execz .LBB56_18
; %bb.17:
	v_add_u32_e32 v10, -4, v1
	ds_read_b32 v10, v10
	s_mov_b32 s2, 0xffff
	s_waitcnt lgkmcnt(0)
	v_cmp_lt_i32_e32 vcc, v2, v10
	v_cndmask_b32_e64 v10, 0, 1, vcc
	v_bfi_b32 v8, s2, v10, v8
.LBB56_18:
	s_or_b64 exec, exec, s[0:1]
	s_movk_i32 s0, 0x7f
	v_cmp_ne_u32_e32 vcc, s0, v0
	v_mov_b32_e32 v10, s6
	ds_write_b32 v1, v2 offset:512
	s_waitcnt lgkmcnt(0)
	s_barrier
	s_and_saveexec_b64 s[0:1], vcc
	s_cbranch_execz .LBB56_20
; %bb.19:
	ds_read_b32 v10, v1 offset:516
.LBB56_20:
	s_or_b64 exec, exec, s[0:1]
	s_waitcnt lgkmcnt(0)
	v_cmp_lt_i32_e32 vcc, v10, v5
	v_cndmask_b32_e64 v10, 0, 1, vcc
	s_mov_b32 s0, 0x5040100
	v_perm_b32 v9, v10, v9, s0
	s_branch .LBB56_27
.LBB56_21:
                                        ; implicit-def: $vgpr7
                                        ; implicit-def: $vgpr8
                                        ; implicit-def: $vgpr9
                                        ; implicit-def: $vgpr6
	s_cbranch_execz .LBB56_27
; %bb.22:
	s_add_i32 s0, s14, -1
	s_mov_b32 s1, 0
	s_lshl_b64 s[2:3], s[0:1], 2
	s_add_u32 s4, s8, s2
	s_addc_u32 s5, s9, s3
	s_add_i32 s0, s14, 0x200
	s_lshl_b64 s[0:1], s[0:1], 2
	s_add_u32 s0, s8, s0
	s_addc_u32 s1, s9, s1
	s_load_dword s3, s[4:5], 0x0
	s_load_dword s2, s[0:1], 0x0
	v_cmp_ne_u32_e32 vcc, 0, v0
	ds_write_b32 v1, v5
	s_waitcnt lgkmcnt(0)
	v_mov_b32_e32 v6, s3
	s_barrier
	s_and_saveexec_b64 s[0:1], vcc
	s_cbranch_execz .LBB56_24
; %bb.23:
	v_add_u32_e32 v6, -4, v1
	ds_read_b32 v6, v6
.LBB56_24:
	s_or_b64 exec, exec, s[0:1]
	s_movk_i32 s0, 0x7f
	v_cmp_ne_u32_e32 vcc, s0, v0
	v_mov_b32_e32 v0, s2
	ds_write_b32 v1, v2 offset:512
	s_waitcnt lgkmcnt(0)
	s_barrier
	s_and_saveexec_b64 s[0:1], vcc
	s_cbranch_execz .LBB56_26
; %bb.25:
	ds_read_b32 v0, v1 offset:516
.LBB56_26:
	s_or_b64 exec, exec, s[0:1]
	v_cmp_lt_i32_e32 vcc, v5, v4
	v_cndmask_b32_e64 v9, 0, 1, vcc
	v_cmp_lt_i32_e32 vcc, v3, v2
	v_cndmask_b32_e64 v7, 0, 1, vcc
	;; [unrolled: 2-line block ×4, first 2 shown]
	s_waitcnt lgkmcnt(0)
	v_cmp_lt_i32_e32 vcc, v0, v5
	s_mov_b32 s0, 0x5040100
	v_cndmask_b32_e64 v0, 0, 1, vcc
	v_perm_b32 v6, v3, v7, s0
	v_perm_b32 v8, v7, v2, s0
	v_perm_b32 v7, v9, v3, s0
	v_perm_b32 v9, v0, v9, s0
.LBB56_27:
	s_lshl_b64 s[0:1], s[14:15], 3
	s_waitcnt vmcnt(0)
	v_lshrrev_b32_e32 v2, 16, v8
	s_add_u32 s2, s10, s0
	v_bfe_i32 v0, v8, 0, 16
	v_bfe_i32 v2, v2, 0, 16
	s_addc_u32 s3, s11, s1
	v_lshlrev_b32_e32 v4, 3, v1
	v_ashrrev_i32_e32 v1, 31, v0
	v_ashrrev_i32_e32 v3, 31, v2
	global_store_dwordx4 v4, v[0:3], s[2:3]
	s_add_u32 s0, s12, s0
	v_lshrrev_b32_e32 v2, 16, v7
	v_bfe_i32 v0, v7, 0, 16
	v_bfe_i32 v2, v2, 0, 16
	v_ashrrev_i32_e32 v1, 31, v0
	v_ashrrev_i32_e32 v3, 31, v2
	global_store_dwordx4 v4, v[0:3], s[2:3] offset:16
	s_addc_u32 s1, s13, s1
	v_lshrrev_b32_e32 v2, 16, v6
	v_bfe_i32 v0, v6, 0, 16
	v_bfe_i32 v2, v2, 0, 16
	v_ashrrev_i32_e32 v1, 31, v0
	v_ashrrev_i32_e32 v3, 31, v2
	global_store_dwordx4 v4, v[0:3], s[0:1]
	s_nop 0
	v_lshrrev_b32_e32 v2, 16, v9
	v_bfe_i32 v0, v9, 0, 16
	v_bfe_i32 v2, v2, 0, 16
	v_ashrrev_i32_e32 v1, 31, v0
	v_ashrrev_i32_e32 v3, 31, v2
	global_store_dwordx4 v4, v[0:3], s[0:1] offset:16
	s_endpgm
	.section	.rodata,"a",@progbits
	.p2align	6, 0x0
	.amdhsa_kernel _Z27flag_heads_and_tails_kernelIisN10test_utils4lessELj128ELj4EEvPT_PxS4_
		.amdhsa_group_segment_fixed_size 1024
		.amdhsa_private_segment_fixed_size 0
		.amdhsa_kernarg_size 24
		.amdhsa_user_sgpr_count 6
		.amdhsa_user_sgpr_private_segment_buffer 1
		.amdhsa_user_sgpr_dispatch_ptr 0
		.amdhsa_user_sgpr_queue_ptr 0
		.amdhsa_user_sgpr_kernarg_segment_ptr 1
		.amdhsa_user_sgpr_dispatch_id 0
		.amdhsa_user_sgpr_flat_scratch_init 0
		.amdhsa_user_sgpr_kernarg_preload_length 0
		.amdhsa_user_sgpr_kernarg_preload_offset 0
		.amdhsa_user_sgpr_private_segment_size 0
		.amdhsa_uses_dynamic_stack 0
		.amdhsa_system_sgpr_private_segment_wavefront_offset 0
		.amdhsa_system_sgpr_workgroup_id_x 1
		.amdhsa_system_sgpr_workgroup_id_y 0
		.amdhsa_system_sgpr_workgroup_id_z 0
		.amdhsa_system_sgpr_workgroup_info 0
		.amdhsa_system_vgpr_workitem_id 0
		.amdhsa_next_free_vgpr 13
		.amdhsa_next_free_sgpr 16
		.amdhsa_accum_offset 16
		.amdhsa_reserve_vcc 1
		.amdhsa_reserve_flat_scratch 0
		.amdhsa_float_round_mode_32 0
		.amdhsa_float_round_mode_16_64 0
		.amdhsa_float_denorm_mode_32 3
		.amdhsa_float_denorm_mode_16_64 3
		.amdhsa_dx10_clamp 1
		.amdhsa_ieee_mode 1
		.amdhsa_fp16_overflow 0
		.amdhsa_tg_split 0
		.amdhsa_exception_fp_ieee_invalid_op 0
		.amdhsa_exception_fp_denorm_src 0
		.amdhsa_exception_fp_ieee_div_zero 0
		.amdhsa_exception_fp_ieee_overflow 0
		.amdhsa_exception_fp_ieee_underflow 0
		.amdhsa_exception_fp_ieee_inexact 0
		.amdhsa_exception_int_div_zero 0
	.end_amdhsa_kernel
	.section	.text._Z27flag_heads_and_tails_kernelIisN10test_utils4lessELj128ELj4EEvPT_PxS4_,"axG",@progbits,_Z27flag_heads_and_tails_kernelIisN10test_utils4lessELj128ELj4EEvPT_PxS4_,comdat
.Lfunc_end56:
	.size	_Z27flag_heads_and_tails_kernelIisN10test_utils4lessELj128ELj4EEvPT_PxS4_, .Lfunc_end56-_Z27flag_heads_and_tails_kernelIisN10test_utils4lessELj128ELj4EEvPT_PxS4_
                                        ; -- End function
	.section	.AMDGPU.csdata,"",@progbits
; Kernel info:
; codeLenInByte = 1308
; NumSgprs: 20
; NumVgprs: 13
; NumAgprs: 0
; TotalNumVgprs: 13
; ScratchSize: 0
; MemoryBound: 0
; FloatMode: 240
; IeeeMode: 1
; LDSByteSize: 1024 bytes/workgroup (compile time only)
; SGPRBlocks: 2
; VGPRBlocks: 1
; NumSGPRsForWavesPerEU: 20
; NumVGPRsForWavesPerEU: 13
; AccumOffset: 16
; Occupancy: 8
; WaveLimiterHint : 0
; COMPUTE_PGM_RSRC2:SCRATCH_EN: 0
; COMPUTE_PGM_RSRC2:USER_SGPR: 6
; COMPUTE_PGM_RSRC2:TRAP_HANDLER: 0
; COMPUTE_PGM_RSRC2:TGID_X_EN: 1
; COMPUTE_PGM_RSRC2:TGID_Y_EN: 0
; COMPUTE_PGM_RSRC2:TGID_Z_EN: 0
; COMPUTE_PGM_RSRC2:TIDIG_COMP_CNT: 0
; COMPUTE_PGM_RSRC3_GFX90A:ACCUM_OFFSET: 3
; COMPUTE_PGM_RSRC3_GFX90A:TG_SPLIT: 0
	.section	.text._Z27flag_heads_and_tails_kernelIic15custom_flag_op2IiELj64ELj2EEvPT_PxS4_,"axG",@progbits,_Z27flag_heads_and_tails_kernelIic15custom_flag_op2IiELj64ELj2EEvPT_PxS4_,comdat
	.protected	_Z27flag_heads_and_tails_kernelIic15custom_flag_op2IiELj64ELj2EEvPT_PxS4_ ; -- Begin function _Z27flag_heads_and_tails_kernelIic15custom_flag_op2IiELj64ELj2EEvPT_PxS4_
	.globl	_Z27flag_heads_and_tails_kernelIic15custom_flag_op2IiELj64ELj2EEvPT_PxS4_
	.p2align	8
	.type	_Z27flag_heads_and_tails_kernelIic15custom_flag_op2IiELj64ELj2EEvPT_PxS4_,@function
_Z27flag_heads_and_tails_kernelIic15custom_flag_op2IiELj64ELj2EEvPT_PxS4_: ; @_Z27flag_heads_and_tails_kernelIic15custom_flag_op2IiELj64ELj2EEvPT_PxS4_
; %bb.0:
	s_load_dwordx4 s[8:11], s[4:5], 0x0
	s_load_dwordx2 s[2:3], s[4:5], 0x10
	s_lshl_b32 s4, s6, 7
	s_mov_b32 s5, 0
	s_lshl_b64 s[0:1], s[4:5], 2
	s_waitcnt lgkmcnt(0)
	s_add_u32 s0, s8, s0
	s_addc_u32 s1, s9, s1
	v_lshlrev_b32_e32 v1, 3, v0
	global_load_dwordx2 v[2:3], v1, s[0:1]
	s_and_b32 s6, s6, 3
	s_cmp_lt_i32 s6, 2
	v_lshlrev_b32_e32 v1, 1, v0
	s_cbranch_scc1 .LBB57_8
; %bb.1:
	s_cmp_gt_i32 s6, 2
	s_cbranch_scc0 .LBB57_9
; %bb.2:
	s_waitcnt vmcnt(0)
	v_sub_u32_e32 v4, v3, v2
	v_cmp_lt_i32_e32 vcc, 5, v4
	v_cndmask_b32_e64 v6, 0, 1, vcc
	v_lshlrev_b16_e32 v4, 8, v6
	v_or_b32_e32 v4, 1, v4
	v_lshlrev_b32_e32 v5, 2, v0
	v_and_b32_e32 v4, 0xffff, v4
	v_cmp_ne_u32_e32 vcc, 0, v0
	ds_write_b32 v5, v3
	s_waitcnt lgkmcnt(0)
	; wave barrier
	s_waitcnt lgkmcnt(0)
	s_and_saveexec_b64 s[0:1], vcc
	s_cbranch_execz .LBB57_4
; %bb.3:
	v_add_u32_e32 v7, -4, v5
	ds_read_b32 v7, v7
	v_and_b32_e32 v4, 0x100, v4
	s_waitcnt lgkmcnt(0)
	v_sub_u32_e32 v7, v2, v7
	v_cmp_lt_i32_e32 vcc, 5, v7
	v_cndmask_b32_e64 v7, 0, 1, vcc
	v_or_b32_e32 v4, v7, v4
	v_and_b32_e32 v4, 0xffff, v4
.LBB57_4:
	s_or_b64 exec, exec, s[0:1]
	v_or_b32_e32 v6, 0x100, v6
	v_and_b32_e32 v7, 0xffff, v6
	v_cmp_ne_u32_e32 vcc, 63, v0
	ds_write_b32 v5, v2 offset:256
	s_waitcnt lgkmcnt(0)
	; wave barrier
	s_waitcnt lgkmcnt(0)
	s_and_saveexec_b64 s[0:1], vcc
	s_cbranch_execz .LBB57_6
; %bb.5:
	ds_read_b32 v5, v5 offset:260
	s_waitcnt lgkmcnt(0)
	v_sub_u32_e32 v5, v5, v3
	v_cmp_lt_i32_e32 vcc, 5, v5
	v_cndmask_b32_e64 v5, 0, 1, vcc
	v_lshlrev_b16_e32 v5, 8, v5
	v_or_b32_sdwa v5, v7, v5 dst_sel:DWORD dst_unused:UNUSED_PAD src0_sel:BYTE_0 src1_sel:DWORD
	v_and_b32_e32 v7, 0xffff, v5
.LBB57_6:
	s_or_b64 exec, exec, s[0:1]
.LBB57_7:
	s_cbranch_execz .LBB57_15
	s_branch .LBB57_27
.LBB57_8:
                                        ; implicit-def: $vgpr4
                                        ; implicit-def: $vgpr7
	s_branch .LBB57_15
.LBB57_9:
                                        ; implicit-def: $vgpr4
                                        ; implicit-def: $vgpr7
	s_cbranch_execz .LBB57_7
; %bb.10:
	s_add_i32 s0, s4, -1
	s_mov_b32 s1, 0
	s_lshl_b64 s[0:1], s[0:1], 2
	s_add_u32 s0, s8, s0
	s_addc_u32 s1, s9, s1
	s_load_dword s0, s[0:1], 0x0
	v_lshlrev_b32_e32 v4, 2, v0
	v_cmp_ne_u32_e32 vcc, 0, v0
	s_waitcnt vmcnt(0)
	ds_write_b32 v4, v3
	s_waitcnt lgkmcnt(0)
	v_mov_b32_e32 v5, s0
	; wave barrier
	s_and_saveexec_b64 s[0:1], vcc
	s_cbranch_execz .LBB57_12
; %bb.11:
	v_add_u32_e32 v5, -4, v4
	ds_read_b32 v5, v5
.LBB57_12:
	s_or_b64 exec, exec, s[0:1]
	v_sub_u32_e32 v6, v3, v2
	v_cmp_lt_i32_e32 vcc, 5, v6
	s_waitcnt lgkmcnt(0)
	v_sub_u32_e32 v5, v2, v5
	v_cndmask_b32_e64 v6, 0, 1, vcc
	v_cmp_lt_i32_e32 vcc, 5, v5
	v_cndmask_b32_e64 v5, 0, 1, vcc
	v_lshlrev_b16_e32 v7, 8, v6
	v_or_b32_e32 v6, 0x100, v6
	v_or_b32_e32 v5, v5, v7
	v_and_b32_e32 v7, 0xffff, v6
	v_cmp_ne_u32_e32 vcc, 63, v0
	ds_write_b32 v4, v2 offset:256
	s_waitcnt lgkmcnt(0)
	; wave barrier
	s_waitcnt lgkmcnt(0)
	s_and_saveexec_b64 s[0:1], vcc
	s_cbranch_execz .LBB57_14
; %bb.13:
	ds_read_b32 v4, v4 offset:260
	s_waitcnt lgkmcnt(0)
	v_sub_u32_e32 v4, v4, v3
	v_cmp_lt_i32_e32 vcc, 5, v4
	v_cndmask_b32_e64 v4, 0, 1, vcc
	v_lshlrev_b16_e32 v4, 8, v4
	v_or_b32_sdwa v4, v7, v4 dst_sel:DWORD dst_unused:UNUSED_PAD src0_sel:BYTE_0 src1_sel:DWORD
	v_and_b32_e32 v7, 0xffff, v4
.LBB57_14:
	s_or_b64 exec, exec, s[0:1]
	v_and_b32_e32 v4, 0xffff, v5
	s_cbranch_execnz .LBB57_27
.LBB57_15:
	s_waitcnt vmcnt(0)
	v_sub_u32_e32 v5, v3, v2
	s_cmp_eq_u32 s6, 1
	v_lshlrev_b32_e32 v6, 2, v0
	v_cmp_lt_i32_e64 s[0:1], 5, v5
	v_cmp_ne_u32_e32 vcc, 0, v0
	s_cbranch_scc1 .LBB57_21
; %bb.16:
	s_add_i32 s6, s4, 0x80
	s_mov_b32 s7, 0
	s_lshl_b64 s[6:7], s[6:7], 2
	s_add_u32 s6, s8, s6
	s_addc_u32 s7, s9, s7
	s_load_dword s6, s[6:7], 0x0
	v_cndmask_b32_e64 v7, 0, 1, s[0:1]
	v_lshlrev_b16_e32 v4, 8, v7
	v_or_b32_e32 v4, 1, v4
	v_and_b32_e32 v4, 0xffff, v4
	ds_write_b32 v6, v3
	s_waitcnt lgkmcnt(0)
	; wave barrier
	s_waitcnt lgkmcnt(0)
	s_and_saveexec_b64 s[0:1], vcc
	s_cbranch_execz .LBB57_18
; %bb.17:
	v_add_u32_e32 v8, -4, v6
	ds_read_b32 v8, v8
	v_and_b32_e32 v4, 0x100, v4
	s_waitcnt lgkmcnt(0)
	v_sub_u32_e32 v8, v2, v8
	v_cmp_lt_i32_e32 vcc, 5, v8
	v_cndmask_b32_e64 v8, 0, 1, vcc
	v_or_b32_e32 v4, v8, v4
	v_and_b32_e32 v4, 0xffff, v4
.LBB57_18:
	s_or_b64 exec, exec, s[0:1]
	v_cmp_ne_u32_e32 vcc, 63, v0
	v_mov_b32_e32 v8, s6
	ds_write_b32 v6, v2 offset:256
	s_waitcnt lgkmcnt(0)
	; wave barrier
	s_waitcnt lgkmcnt(0)
	s_and_saveexec_b64 s[0:1], vcc
	s_cbranch_execz .LBB57_20
; %bb.19:
	ds_read_b32 v8, v6 offset:260
.LBB57_20:
	s_or_b64 exec, exec, s[0:1]
	s_waitcnt lgkmcnt(0)
	v_sub_u32_e32 v8, v8, v3
	v_cmp_lt_i32_e32 vcc, 5, v8
	v_cndmask_b32_e64 v8, 0, 1, vcc
	v_lshlrev_b16_e32 v8, 8, v8
	v_or_b32_e32 v7, v7, v8
	v_and_b32_e32 v7, 0xffff, v7
	s_branch .LBB57_27
.LBB57_21:
                                        ; implicit-def: $vgpr4
                                        ; implicit-def: $vgpr7
	s_cbranch_execz .LBB57_27
; %bb.22:
	s_add_i32 s0, s4, -1
	s_mov_b32 s1, 0
	s_lshl_b64 s[6:7], s[0:1], 2
	s_add_u32 s12, s8, s6
	s_addc_u32 s13, s9, s7
	s_add_i32 s0, s4, 0x80
	s_lshl_b64 s[0:1], s[0:1], 2
	s_add_u32 s0, s8, s0
	s_addc_u32 s1, s9, s1
	s_load_dword s7, s[12:13], 0x0
	s_load_dword s6, s[0:1], 0x0
	v_cmp_ne_u32_e32 vcc, 0, v0
	ds_write_b32 v6, v3
	s_waitcnt lgkmcnt(0)
	v_mov_b32_e32 v4, s7
	; wave barrier
	s_and_saveexec_b64 s[0:1], vcc
	s_cbranch_execz .LBB57_24
; %bb.23:
	v_add_u32_e32 v4, -4, v6
	ds_read_b32 v4, v4
.LBB57_24:
	s_or_b64 exec, exec, s[0:1]
	v_cmp_ne_u32_e32 vcc, 63, v0
	v_mov_b32_e32 v0, s6
	ds_write_b32 v6, v2 offset:256
	s_waitcnt lgkmcnt(0)
	; wave barrier
	s_waitcnt lgkmcnt(0)
	s_and_saveexec_b64 s[0:1], vcc
	s_cbranch_execz .LBB57_26
; %bb.25:
	ds_read_b32 v0, v6 offset:260
.LBB57_26:
	s_or_b64 exec, exec, s[0:1]
	v_cmp_lt_i32_e32 vcc, 5, v5
	v_sub_u32_e32 v2, v2, v4
	v_cndmask_b32_e64 v5, 0, 1, vcc
	v_cmp_lt_i32_e32 vcc, 5, v2
	s_waitcnt lgkmcnt(0)
	v_sub_u32_e32 v0, v0, v3
	v_cndmask_b32_e64 v2, 0, 1, vcc
	v_cmp_lt_i32_e32 vcc, 5, v0
	v_cndmask_b32_e64 v0, 0, 1, vcc
	v_lshlrev_b16_e32 v4, 8, v5
	v_lshlrev_b16_e32 v0, 8, v0
	v_or_b32_e32 v2, v2, v4
	v_or_b32_e32 v0, v5, v0
	v_and_b32_e32 v4, 0xffff, v2
	v_and_b32_e32 v7, 0xffff, v0
.LBB57_27:
	s_lshl_b64 s[0:1], s[4:5], 3
	s_waitcnt vmcnt(0)
	v_lshrrev_b16_e32 v2, 8, v4
	s_add_u32 s4, s10, s0
	v_bfe_i32 v0, v4, 0, 8
	v_bfe_i32 v2, v2, 0, 8
	s_addc_u32 s5, s11, s1
	v_lshlrev_b32_e32 v5, 3, v1
	v_ashrrev_i32_e32 v1, 31, v0
	v_ashrrev_i32_e32 v3, 31, v2
	global_store_dwordx4 v5, v[0:3], s[4:5]
	s_add_u32 s0, s2, s0
	v_lshrrev_b16_e32 v2, 8, v7
	v_bfe_i32 v0, v7, 0, 8
	v_bfe_i32 v2, v2, 0, 8
	s_addc_u32 s1, s3, s1
	v_ashrrev_i32_e32 v1, 31, v0
	v_ashrrev_i32_e32 v3, 31, v2
	global_store_dwordx4 v5, v[0:3], s[0:1]
	s_endpgm
	.section	.rodata,"a",@progbits
	.p2align	6, 0x0
	.amdhsa_kernel _Z27flag_heads_and_tails_kernelIic15custom_flag_op2IiELj64ELj2EEvPT_PxS4_
		.amdhsa_group_segment_fixed_size 512
		.amdhsa_private_segment_fixed_size 0
		.amdhsa_kernarg_size 24
		.amdhsa_user_sgpr_count 6
		.amdhsa_user_sgpr_private_segment_buffer 1
		.amdhsa_user_sgpr_dispatch_ptr 0
		.amdhsa_user_sgpr_queue_ptr 0
		.amdhsa_user_sgpr_kernarg_segment_ptr 1
		.amdhsa_user_sgpr_dispatch_id 0
		.amdhsa_user_sgpr_flat_scratch_init 0
		.amdhsa_user_sgpr_kernarg_preload_length 0
		.amdhsa_user_sgpr_kernarg_preload_offset 0
		.amdhsa_user_sgpr_private_segment_size 0
		.amdhsa_uses_dynamic_stack 0
		.amdhsa_system_sgpr_private_segment_wavefront_offset 0
		.amdhsa_system_sgpr_workgroup_id_x 1
		.amdhsa_system_sgpr_workgroup_id_y 0
		.amdhsa_system_sgpr_workgroup_id_z 0
		.amdhsa_system_sgpr_workgroup_info 0
		.amdhsa_system_vgpr_workitem_id 0
		.amdhsa_next_free_vgpr 9
		.amdhsa_next_free_sgpr 14
		.amdhsa_accum_offset 12
		.amdhsa_reserve_vcc 1
		.amdhsa_reserve_flat_scratch 0
		.amdhsa_float_round_mode_32 0
		.amdhsa_float_round_mode_16_64 0
		.amdhsa_float_denorm_mode_32 3
		.amdhsa_float_denorm_mode_16_64 3
		.amdhsa_dx10_clamp 1
		.amdhsa_ieee_mode 1
		.amdhsa_fp16_overflow 0
		.amdhsa_tg_split 0
		.amdhsa_exception_fp_ieee_invalid_op 0
		.amdhsa_exception_fp_denorm_src 0
		.amdhsa_exception_fp_ieee_div_zero 0
		.amdhsa_exception_fp_ieee_overflow 0
		.amdhsa_exception_fp_ieee_underflow 0
		.amdhsa_exception_fp_ieee_inexact 0
		.amdhsa_exception_int_div_zero 0
	.end_amdhsa_kernel
	.section	.text._Z27flag_heads_and_tails_kernelIic15custom_flag_op2IiELj64ELj2EEvPT_PxS4_,"axG",@progbits,_Z27flag_heads_and_tails_kernelIic15custom_flag_op2IiELj64ELj2EEvPT_PxS4_,comdat
.Lfunc_end57:
	.size	_Z27flag_heads_and_tails_kernelIic15custom_flag_op2IiELj64ELj2EEvPT_PxS4_, .Lfunc_end57-_Z27flag_heads_and_tails_kernelIic15custom_flag_op2IiELj64ELj2EEvPT_PxS4_
                                        ; -- End function
	.section	.AMDGPU.csdata,"",@progbits
; Kernel info:
; codeLenInByte = 1128
; NumSgprs: 18
; NumVgprs: 9
; NumAgprs: 0
; TotalNumVgprs: 9
; ScratchSize: 0
; MemoryBound: 0
; FloatMode: 240
; IeeeMode: 1
; LDSByteSize: 512 bytes/workgroup (compile time only)
; SGPRBlocks: 2
; VGPRBlocks: 1
; NumSGPRsForWavesPerEU: 18
; NumVGPRsForWavesPerEU: 9
; AccumOffset: 12
; Occupancy: 8
; WaveLimiterHint : 0
; COMPUTE_PGM_RSRC2:SCRATCH_EN: 0
; COMPUTE_PGM_RSRC2:USER_SGPR: 6
; COMPUTE_PGM_RSRC2:TRAP_HANDLER: 0
; COMPUTE_PGM_RSRC2:TGID_X_EN: 1
; COMPUTE_PGM_RSRC2:TGID_Y_EN: 0
; COMPUTE_PGM_RSRC2:TGID_Z_EN: 0
; COMPUTE_PGM_RSRC2:TIDIG_COMP_CNT: 0
; COMPUTE_PGM_RSRC3_GFX90A:ACCUM_OFFSET: 2
; COMPUTE_PGM_RSRC3_GFX90A:TG_SPLIT: 0
	.section	.text._Z27flag_heads_and_tails_kernelIhbN6hipcub8EqualityELj255ELj1EEvPT_PxS4_,"axG",@progbits,_Z27flag_heads_and_tails_kernelIhbN6hipcub8EqualityELj255ELj1EEvPT_PxS4_,comdat
	.protected	_Z27flag_heads_and_tails_kernelIhbN6hipcub8EqualityELj255ELj1EEvPT_PxS4_ ; -- Begin function _Z27flag_heads_and_tails_kernelIhbN6hipcub8EqualityELj255ELj1EEvPT_PxS4_
	.globl	_Z27flag_heads_and_tails_kernelIhbN6hipcub8EqualityELj255ELj1EEvPT_PxS4_
	.p2align	8
	.type	_Z27flag_heads_and_tails_kernelIhbN6hipcub8EqualityELj255ELj1EEvPT_PxS4_,@function
_Z27flag_heads_and_tails_kernelIhbN6hipcub8EqualityELj255ELj1EEvPT_PxS4_: ; @_Z27flag_heads_and_tails_kernelIhbN6hipcub8EqualityELj255ELj1EEvPT_PxS4_
; %bb.0:
	s_load_dwordx4 s[0:3], s[4:5], 0x0
	s_load_dwordx2 s[8:9], s[4:5], 0x10
	s_mul_i32 s4, s6, 0xff
	s_mov_b32 s5, 0
	s_waitcnt lgkmcnt(0)
	s_add_u32 s10, s0, s4
	s_addc_u32 s11, s1, 0
	global_load_ubyte v1, v0, s[10:11]
	s_and_b32 s14, s6, 3
	s_cmp_lt_i32 s14, 2
	s_cbranch_scc1 .LBB58_8
; %bb.1:
	s_cmp_gt_i32 s14, 2
	s_cbranch_scc0 .LBB58_9
; %bb.2:
	v_cmp_ne_u32_e32 vcc, 0, v0
	v_mov_b32_e32 v2, 1
	s_waitcnt vmcnt(0)
	ds_write_b8 v0, v1
	s_waitcnt lgkmcnt(0)
	s_barrier
	s_and_saveexec_b64 s[6:7], vcc
	s_cbranch_execz .LBB58_4
; %bb.3:
	v_add_u32_e32 v2, -1, v0
	ds_read_u8 v2, v2
	s_waitcnt lgkmcnt(0)
	v_cmp_eq_u16_sdwa s[10:11], v2, v1 src0_sel:DWORD src1_sel:BYTE_0
	v_cndmask_b32_e64 v2, 0, 1, s[10:11]
.LBB58_4:
	s_or_b64 exec, exec, s[6:7]
	s_movk_i32 s6, 0xfe
	v_cmp_ne_u32_e32 vcc, s6, v0
	s_mov_b64 s[6:7], -1
	ds_write_b8 v0, v1 offset:255
	s_waitcnt lgkmcnt(0)
	s_barrier
	s_and_saveexec_b64 s[10:11], vcc
	s_cbranch_execz .LBB58_6
; %bb.5:
	ds_read_u8 v3, v0 offset:256
	s_waitcnt lgkmcnt(0)
	v_cmp_eq_u16_sdwa s[6:7], v3, v1 src0_sel:DWORD src1_sel:BYTE_0
	s_orn2_b64 s[6:7], s[6:7], exec
.LBB58_6:
	s_or_b64 exec, exec, s[10:11]
.LBB58_7:
	s_cbranch_execz .LBB58_15
	s_branch .LBB58_27
.LBB58_8:
                                        ; implicit-def: $sgpr6_sgpr7
                                        ; implicit-def: $vgpr2
	s_branch .LBB58_15
.LBB58_9:
                                        ; implicit-def: $sgpr6_sgpr7
                                        ; implicit-def: $vgpr2
	s_cbranch_execz .LBB58_7
; %bb.10:
	s_add_i32 s6, s4, -1
	v_mov_b32_e32 v2, s6
	global_load_ubyte v2, v2, s[0:1]
	v_cmp_ne_u32_e32 vcc, 0, v0
	s_waitcnt vmcnt(1)
	ds_write_b8 v0, v1
	s_waitcnt lgkmcnt(0)
	s_barrier
	s_and_saveexec_b64 s[6:7], vcc
	s_cbranch_execz .LBB58_12
; %bb.11:
	s_waitcnt vmcnt(0)
	v_add_u32_e32 v2, -1, v0
	ds_read_u8 v2, v2
.LBB58_12:
	s_or_b64 exec, exec, s[6:7]
	s_movk_i32 s6, 0xfe
	s_waitcnt vmcnt(0) lgkmcnt(0)
	v_cmp_eq_u16_sdwa s[10:11], v2, v1 src0_sel:BYTE_0 src1_sel:BYTE_0
	v_cmp_ne_u32_e32 vcc, s6, v0
	s_mov_b64 s[6:7], -1
	ds_write_b8 v0, v1 offset:255
	s_waitcnt lgkmcnt(0)
	s_barrier
	s_and_saveexec_b64 s[12:13], vcc
	s_cbranch_execz .LBB58_14
; %bb.13:
	ds_read_u8 v2, v0 offset:256
	s_waitcnt lgkmcnt(0)
	v_cmp_eq_u16_sdwa s[6:7], v2, v1 src0_sel:DWORD src1_sel:BYTE_0
	s_orn2_b64 s[6:7], s[6:7], exec
.LBB58_14:
	s_or_b64 exec, exec, s[12:13]
	v_cndmask_b32_e64 v2, 0, 1, s[10:11]
	s_cbranch_execnz .LBB58_27
.LBB58_15:
	s_cmp_eq_u32 s14, 1
	v_cmp_ne_u32_e32 vcc, 0, v0
	s_cbranch_scc1 .LBB58_21
; %bb.16:
	s_add_i32 s6, s4, 0xff
	v_mov_b32_e32 v2, s6
	global_load_ubyte v3, v2, s[0:1]
	v_mov_b32_e32 v2, 1
	s_waitcnt vmcnt(1)
	ds_write_b8 v0, v1
	s_waitcnt lgkmcnt(0)
	s_barrier
	s_and_saveexec_b64 s[6:7], vcc
	s_cbranch_execz .LBB58_18
; %bb.17:
	v_add_u32_e32 v2, -1, v0
	ds_read_u8 v2, v2
	s_waitcnt lgkmcnt(0)
	v_cmp_eq_u16_sdwa s[10:11], v2, v1 src0_sel:DWORD src1_sel:BYTE_0
	v_cndmask_b32_e64 v2, 0, 1, s[10:11]
.LBB58_18:
	s_or_b64 exec, exec, s[6:7]
	s_movk_i32 s6, 0xfe
	v_cmp_ne_u32_e32 vcc, s6, v0
	ds_write_b8 v0, v1 offset:255
	s_waitcnt lgkmcnt(0)
	s_barrier
	s_and_saveexec_b64 s[6:7], vcc
	s_cbranch_execz .LBB58_20
; %bb.19:
	s_waitcnt vmcnt(0)
	ds_read_u8 v3, v0 offset:256
.LBB58_20:
	s_or_b64 exec, exec, s[6:7]
	s_waitcnt vmcnt(0) lgkmcnt(0)
	v_cmp_eq_u16_sdwa s[6:7], v3, v1 src0_sel:BYTE_0 src1_sel:BYTE_0
	s_branch .LBB58_27
.LBB58_21:
                                        ; implicit-def: $sgpr6_sgpr7
                                        ; implicit-def: $vgpr2
	s_cbranch_execz .LBB58_27
; %bb.22:
	s_add_i32 s6, s4, -1
	v_mov_b32_e32 v4, s6
	s_add_i32 s6, s4, 0xff
	v_mov_b32_e32 v5, s6
	global_load_ubyte v2, v4, s[0:1]
	global_load_ubyte v3, v5, s[0:1]
	v_cmp_ne_u32_e32 vcc, 0, v0
	s_waitcnt vmcnt(2)
	ds_write_b8 v0, v1
	s_waitcnt lgkmcnt(0)
	s_barrier
	s_and_saveexec_b64 s[0:1], vcc
	s_cbranch_execz .LBB58_24
; %bb.23:
	s_waitcnt vmcnt(1)
	v_add_u32_e32 v2, -1, v0
	ds_read_u8 v2, v2
.LBB58_24:
	s_or_b64 exec, exec, s[0:1]
	s_movk_i32 s0, 0xfe
	v_cmp_ne_u32_e32 vcc, s0, v0
	ds_write_b8 v0, v1 offset:255
	s_waitcnt lgkmcnt(0)
	s_barrier
	s_and_saveexec_b64 s[0:1], vcc
	s_cbranch_execz .LBB58_26
; %bb.25:
	s_waitcnt vmcnt(0)
	ds_read_u8 v3, v0 offset:256
.LBB58_26:
	s_or_b64 exec, exec, s[0:1]
	s_waitcnt vmcnt(1)
	v_cmp_eq_u16_sdwa s[0:1], v2, v1 src0_sel:BYTE_0 src1_sel:BYTE_0
	v_cndmask_b32_e64 v2, 0, 1, s[0:1]
	s_waitcnt vmcnt(0) lgkmcnt(0)
	v_cmp_eq_u16_sdwa s[6:7], v3, v1 src0_sel:BYTE_0 src1_sel:BYTE_0
.LBB58_27:
	s_lshl_b64 s[0:1], s[4:5], 3
	s_add_u32 s2, s2, s0
	s_addc_u32 s3, s3, s1
	v_lshlrev_b32_e32 v3, 3, v0
	v_and_b32_e32 v0, 0xff, v2
	s_waitcnt vmcnt(0)
	v_mov_b32_e32 v1, 0
	global_store_dwordx2 v3, v[0:1], s[2:3]
	s_add_u32 s0, s8, s0
	s_mov_b32 s2, 0
	s_addc_u32 s1, s9, s1
	v_cndmask_b32_e64 v0, 0, 1, s[6:7]
	v_mov_b32_e32 v1, s2
	global_store_dwordx2 v3, v[0:1], s[0:1]
	s_endpgm
	.section	.rodata,"a",@progbits
	.p2align	6, 0x0
	.amdhsa_kernel _Z27flag_heads_and_tails_kernelIhbN6hipcub8EqualityELj255ELj1EEvPT_PxS4_
		.amdhsa_group_segment_fixed_size 510
		.amdhsa_private_segment_fixed_size 0
		.amdhsa_kernarg_size 24
		.amdhsa_user_sgpr_count 6
		.amdhsa_user_sgpr_private_segment_buffer 1
		.amdhsa_user_sgpr_dispatch_ptr 0
		.amdhsa_user_sgpr_queue_ptr 0
		.amdhsa_user_sgpr_kernarg_segment_ptr 1
		.amdhsa_user_sgpr_dispatch_id 0
		.amdhsa_user_sgpr_flat_scratch_init 0
		.amdhsa_user_sgpr_kernarg_preload_length 0
		.amdhsa_user_sgpr_kernarg_preload_offset 0
		.amdhsa_user_sgpr_private_segment_size 0
		.amdhsa_uses_dynamic_stack 0
		.amdhsa_system_sgpr_private_segment_wavefront_offset 0
		.amdhsa_system_sgpr_workgroup_id_x 1
		.amdhsa_system_sgpr_workgroup_id_y 0
		.amdhsa_system_sgpr_workgroup_id_z 0
		.amdhsa_system_sgpr_workgroup_info 0
		.amdhsa_system_vgpr_workitem_id 0
		.amdhsa_next_free_vgpr 6
		.amdhsa_next_free_sgpr 15
		.amdhsa_accum_offset 8
		.amdhsa_reserve_vcc 1
		.amdhsa_reserve_flat_scratch 0
		.amdhsa_float_round_mode_32 0
		.amdhsa_float_round_mode_16_64 0
		.amdhsa_float_denorm_mode_32 3
		.amdhsa_float_denorm_mode_16_64 3
		.amdhsa_dx10_clamp 1
		.amdhsa_ieee_mode 1
		.amdhsa_fp16_overflow 0
		.amdhsa_tg_split 0
		.amdhsa_exception_fp_ieee_invalid_op 0
		.amdhsa_exception_fp_denorm_src 0
		.amdhsa_exception_fp_ieee_div_zero 0
		.amdhsa_exception_fp_ieee_overflow 0
		.amdhsa_exception_fp_ieee_underflow 0
		.amdhsa_exception_fp_ieee_inexact 0
		.amdhsa_exception_int_div_zero 0
	.end_amdhsa_kernel
	.section	.text._Z27flag_heads_and_tails_kernelIhbN6hipcub8EqualityELj255ELj1EEvPT_PxS4_,"axG",@progbits,_Z27flag_heads_and_tails_kernelIhbN6hipcub8EqualityELj255ELj1EEvPT_PxS4_,comdat
.Lfunc_end58:
	.size	_Z27flag_heads_and_tails_kernelIhbN6hipcub8EqualityELj255ELj1EEvPT_PxS4_, .Lfunc_end58-_Z27flag_heads_and_tails_kernelIhbN6hipcub8EqualityELj255ELj1EEvPT_PxS4_
                                        ; -- End function
	.section	.AMDGPU.csdata,"",@progbits
; Kernel info:
; codeLenInByte = 788
; NumSgprs: 19
; NumVgprs: 6
; NumAgprs: 0
; TotalNumVgprs: 6
; ScratchSize: 0
; MemoryBound: 0
; FloatMode: 240
; IeeeMode: 1
; LDSByteSize: 510 bytes/workgroup (compile time only)
; SGPRBlocks: 2
; VGPRBlocks: 0
; NumSGPRsForWavesPerEU: 19
; NumVGPRsForWavesPerEU: 6
; AccumOffset: 8
; Occupancy: 8
; WaveLimiterHint : 0
; COMPUTE_PGM_RSRC2:SCRATCH_EN: 0
; COMPUTE_PGM_RSRC2:USER_SGPR: 6
; COMPUTE_PGM_RSRC2:TRAP_HANDLER: 0
; COMPUTE_PGM_RSRC2:TGID_X_EN: 1
; COMPUTE_PGM_RSRC2:TGID_Y_EN: 0
; COMPUTE_PGM_RSRC2:TGID_Z_EN: 0
; COMPUTE_PGM_RSRC2:TIDIG_COMP_CNT: 0
; COMPUTE_PGM_RSRC3_GFX90A:ACCUM_OFFSET: 1
; COMPUTE_PGM_RSRC3_GFX90A:TG_SPLIT: 0
	.section	.text._Z27flag_heads_and_tails_kernelIjxN6hipcub10InequalityELj162ELj1EEvPT_PxS4_,"axG",@progbits,_Z27flag_heads_and_tails_kernelIjxN6hipcub10InequalityELj162ELj1EEvPT_PxS4_,comdat
	.protected	_Z27flag_heads_and_tails_kernelIjxN6hipcub10InequalityELj162ELj1EEvPT_PxS4_ ; -- Begin function _Z27flag_heads_and_tails_kernelIjxN6hipcub10InequalityELj162ELj1EEvPT_PxS4_
	.globl	_Z27flag_heads_and_tails_kernelIjxN6hipcub10InequalityELj162ELj1EEvPT_PxS4_
	.p2align	8
	.type	_Z27flag_heads_and_tails_kernelIjxN6hipcub10InequalityELj162ELj1EEvPT_PxS4_,@function
_Z27flag_heads_and_tails_kernelIjxN6hipcub10InequalityELj162ELj1EEvPT_PxS4_: ; @_Z27flag_heads_and_tails_kernelIjxN6hipcub10InequalityELj162ELj1EEvPT_PxS4_
; %bb.0:
	s_load_dwordx4 s[0:3], s[4:5], 0x0
	s_load_dwordx2 s[8:9], s[4:5], 0x10
	s_mul_i32 s4, s6, 0xa2
	s_mov_b32 s5, 0
	s_lshl_b64 s[10:11], s[4:5], 2
	s_waitcnt lgkmcnt(0)
	s_add_u32 s10, s0, s10
	s_addc_u32 s11, s1, s11
	v_lshlrev_b32_e32 v4, 2, v0
	global_load_dword v1, v4, s[10:11]
	s_and_b32 s14, s6, 3
	s_cmp_lt_i32 s14, 2
	s_cbranch_scc1 .LBB59_8
; %bb.1:
	s_cmp_gt_i32 s14, 2
	s_cbranch_scc0 .LBB59_9
; %bb.2:
	v_mov_b32_e32 v2, 1
	s_mov_b32 s10, 0
	v_cmp_ne_u32_e32 vcc, 0, v0
	v_mov_b32_e32 v3, 0
	s_waitcnt vmcnt(0)
	ds_write_b32 v4, v1
	s_waitcnt lgkmcnt(0)
	s_barrier
	s_and_saveexec_b64 s[6:7], vcc
	s_cbranch_execz .LBB59_4
; %bb.3:
	v_add_u32_e32 v2, -4, v4
	ds_read_b32 v2, v2
	v_mov_b32_e32 v3, s10
	s_waitcnt lgkmcnt(0)
	v_cmp_ne_u32_e32 vcc, v2, v1
	v_cndmask_b32_e64 v2, 0, 1, vcc
.LBB59_4:
	s_or_b64 exec, exec, s[6:7]
	s_movk_i32 s6, 0xa1
	v_cmp_ne_u32_e32 vcc, s6, v0
	s_mov_b64 s[6:7], -1
	ds_write_b32 v4, v1 offset:648
	s_waitcnt lgkmcnt(0)
	s_barrier
	s_and_saveexec_b64 s[10:11], vcc
	s_cbranch_execz .LBB59_6
; %bb.5:
	ds_read_b32 v5, v4 offset:652
	s_waitcnt lgkmcnt(0)
	v_cmp_ne_u32_e32 vcc, v5, v1
	s_orn2_b64 s[6:7], vcc, exec
.LBB59_6:
	s_or_b64 exec, exec, s[10:11]
.LBB59_7:
	s_cbranch_execz .LBB59_15
	s_branch .LBB59_27
.LBB59_8:
                                        ; implicit-def: $sgpr6_sgpr7
                                        ; implicit-def: $vgpr2_vgpr3
	s_branch .LBB59_15
.LBB59_9:
                                        ; implicit-def: $sgpr6_sgpr7
                                        ; implicit-def: $vgpr2_vgpr3
	s_cbranch_execz .LBB59_7
; %bb.10:
	s_add_i32 s10, s4, -1
	s_mov_b32 s11, 0
	s_lshl_b64 s[6:7], s[10:11], 2
	s_add_u32 s6, s0, s6
	s_addc_u32 s7, s1, s7
	s_load_dword s6, s[6:7], 0x0
	v_cmp_ne_u32_e32 vcc, 0, v0
	s_waitcnt vmcnt(0)
	ds_write_b32 v4, v1
	s_waitcnt lgkmcnt(0)
	s_barrier
	v_mov_b32_e32 v2, s6
	s_and_saveexec_b64 s[6:7], vcc
	s_cbranch_execz .LBB59_12
; %bb.11:
	v_add_u32_e32 v2, -4, v4
	ds_read_b32 v2, v2
.LBB59_12:
	s_or_b64 exec, exec, s[6:7]
	s_waitcnt lgkmcnt(0)
	v_cmp_ne_u32_e32 vcc, v2, v1
	s_movk_i32 s6, 0xa1
	v_cndmask_b32_e64 v2, 0, 1, vcc
	v_cmp_ne_u32_e32 vcc, s6, v0
	s_mov_b64 s[6:7], -1
	ds_write_b32 v4, v1 offset:648
	s_waitcnt lgkmcnt(0)
	s_barrier
	s_and_saveexec_b64 s[12:13], vcc
	s_cbranch_execz .LBB59_14
; %bb.13:
	ds_read_b32 v3, v4 offset:652
	s_waitcnt lgkmcnt(0)
	v_cmp_ne_u32_e32 vcc, v3, v1
	s_orn2_b64 s[6:7], vcc, exec
.LBB59_14:
	s_or_b64 exec, exec, s[12:13]
	v_mov_b32_e32 v3, s11
	s_cbranch_execnz .LBB59_27
.LBB59_15:
	s_cmp_eq_u32 s14, 1
	v_cmp_ne_u32_e32 vcc, 0, v0
	s_cbranch_scc1 .LBB59_21
; %bb.16:
	s_add_i32 s6, s4, 0xa2
	s_mov_b32 s7, 0
	s_lshl_b64 s[10:11], s[6:7], 2
	s_add_u32 s10, s0, s10
	s_addc_u32 s11, s1, s11
	s_load_dword s6, s[10:11], 0x0
	v_mov_b32_e32 v2, 1
	v_mov_b32_e32 v3, 0
	s_waitcnt vmcnt(0)
	ds_write_b32 v4, v1
	s_waitcnt lgkmcnt(0)
	s_barrier
	s_and_saveexec_b64 s[10:11], vcc
	s_cbranch_execz .LBB59_18
; %bb.17:
	v_add_u32_e32 v2, -4, v4
	ds_read_b32 v2, v2
	v_mov_b32_e32 v3, s7
	s_waitcnt lgkmcnt(0)
	v_cmp_ne_u32_e32 vcc, v2, v1
	v_cndmask_b32_e64 v2, 0, 1, vcc
.LBB59_18:
	s_or_b64 exec, exec, s[10:11]
	s_movk_i32 s7, 0xa1
	v_cmp_ne_u32_e32 vcc, s7, v0
	v_mov_b32_e32 v5, s6
	ds_write_b32 v4, v1 offset:648
	s_waitcnt lgkmcnt(0)
	s_barrier
	s_and_saveexec_b64 s[6:7], vcc
	s_cbranch_execz .LBB59_20
; %bb.19:
	ds_read_b32 v5, v4 offset:652
.LBB59_20:
	s_or_b64 exec, exec, s[6:7]
	s_waitcnt lgkmcnt(0)
	v_cmp_ne_u32_e64 s[6:7], v5, v1
	s_branch .LBB59_27
.LBB59_21:
                                        ; implicit-def: $sgpr6_sgpr7
                                        ; implicit-def: $vgpr2_vgpr3
	s_cbranch_execz .LBB59_27
; %bb.22:
	s_add_i32 s6, s4, -1
	s_mov_b32 s7, 0
	s_lshl_b64 s[10:11], s[6:7], 2
	s_add_u32 s10, s0, s10
	s_addc_u32 s11, s1, s11
	s_add_i32 s6, s4, 0xa2
	s_lshl_b64 s[6:7], s[6:7], 2
	s_add_u32 s0, s0, s6
	s_addc_u32 s1, s1, s7
	s_load_dword s7, s[10:11], 0x0
	s_load_dword s6, s[0:1], 0x0
	v_cmp_ne_u32_e32 vcc, 0, v0
	s_waitcnt vmcnt(0)
	ds_write_b32 v4, v1
	s_waitcnt lgkmcnt(0)
	v_mov_b32_e32 v2, s7
	s_barrier
	s_and_saveexec_b64 s[0:1], vcc
	s_cbranch_execz .LBB59_24
; %bb.23:
	v_add_u32_e32 v2, -4, v4
	ds_read_b32 v2, v2
.LBB59_24:
	s_or_b64 exec, exec, s[0:1]
	s_movk_i32 s0, 0xa1
	v_cmp_ne_u32_e32 vcc, s0, v0
	v_mov_b32_e32 v5, s6
	ds_write_b32 v4, v1 offset:648
	s_waitcnt lgkmcnt(0)
	s_barrier
	s_and_saveexec_b64 s[0:1], vcc
	s_cbranch_execz .LBB59_26
; %bb.25:
	ds_read_b32 v5, v4 offset:652
.LBB59_26:
	s_or_b64 exec, exec, s[0:1]
	v_cmp_ne_u32_e32 vcc, v2, v1
	s_mov_b32 s0, 0
	v_cndmask_b32_e64 v2, 0, 1, vcc
	v_mov_b32_e32 v3, s0
	s_waitcnt lgkmcnt(0)
	v_cmp_ne_u32_e64 s[6:7], v5, v1
.LBB59_27:
	s_mov_b32 s0, 0
	v_mov_b32_e32 v5, s0
	s_lshl_b64 s[0:1], s[4:5], 3
	s_add_u32 s2, s2, s0
	s_addc_u32 s3, s3, s1
	s_add_u32 s0, s8, s0
	v_cndmask_b32_e64 v4, 0, 1, s[6:7]
	v_lshlrev_b32_e32 v0, 3, v0
	s_addc_u32 s1, s9, s1
	global_store_dwordx2 v0, v[2:3], s[2:3]
	global_store_dwordx2 v0, v[4:5], s[0:1]
	s_endpgm
	.section	.rodata,"a",@progbits
	.p2align	6, 0x0
	.amdhsa_kernel _Z27flag_heads_and_tails_kernelIjxN6hipcub10InequalityELj162ELj1EEvPT_PxS4_
		.amdhsa_group_segment_fixed_size 1296
		.amdhsa_private_segment_fixed_size 0
		.amdhsa_kernarg_size 24
		.amdhsa_user_sgpr_count 6
		.amdhsa_user_sgpr_private_segment_buffer 1
		.amdhsa_user_sgpr_dispatch_ptr 0
		.amdhsa_user_sgpr_queue_ptr 0
		.amdhsa_user_sgpr_kernarg_segment_ptr 1
		.amdhsa_user_sgpr_dispatch_id 0
		.amdhsa_user_sgpr_flat_scratch_init 0
		.amdhsa_user_sgpr_kernarg_preload_length 0
		.amdhsa_user_sgpr_kernarg_preload_offset 0
		.amdhsa_user_sgpr_private_segment_size 0
		.amdhsa_uses_dynamic_stack 0
		.amdhsa_system_sgpr_private_segment_wavefront_offset 0
		.amdhsa_system_sgpr_workgroup_id_x 1
		.amdhsa_system_sgpr_workgroup_id_y 0
		.amdhsa_system_sgpr_workgroup_id_z 0
		.amdhsa_system_sgpr_workgroup_info 0
		.amdhsa_system_vgpr_workitem_id 0
		.amdhsa_next_free_vgpr 6
		.amdhsa_next_free_sgpr 15
		.amdhsa_accum_offset 8
		.amdhsa_reserve_vcc 1
		.amdhsa_reserve_flat_scratch 0
		.amdhsa_float_round_mode_32 0
		.amdhsa_float_round_mode_16_64 0
		.amdhsa_float_denorm_mode_32 3
		.amdhsa_float_denorm_mode_16_64 3
		.amdhsa_dx10_clamp 1
		.amdhsa_ieee_mode 1
		.amdhsa_fp16_overflow 0
		.amdhsa_tg_split 0
		.amdhsa_exception_fp_ieee_invalid_op 0
		.amdhsa_exception_fp_denorm_src 0
		.amdhsa_exception_fp_ieee_div_zero 0
		.amdhsa_exception_fp_ieee_overflow 0
		.amdhsa_exception_fp_ieee_underflow 0
		.amdhsa_exception_fp_ieee_inexact 0
		.amdhsa_exception_int_div_zero 0
	.end_amdhsa_kernel
	.section	.text._Z27flag_heads_and_tails_kernelIjxN6hipcub10InequalityELj162ELj1EEvPT_PxS4_,"axG",@progbits,_Z27flag_heads_and_tails_kernelIjxN6hipcub10InequalityELj162ELj1EEvPT_PxS4_,comdat
.Lfunc_end59:
	.size	_Z27flag_heads_and_tails_kernelIjxN6hipcub10InequalityELj162ELj1EEvPT_PxS4_, .Lfunc_end59-_Z27flag_heads_and_tails_kernelIjxN6hipcub10InequalityELj162ELj1EEvPT_PxS4_
                                        ; -- End function
	.section	.AMDGPU.csdata,"",@progbits
; Kernel info:
; codeLenInByte = 828
; NumSgprs: 19
; NumVgprs: 6
; NumAgprs: 0
; TotalNumVgprs: 6
; ScratchSize: 0
; MemoryBound: 0
; FloatMode: 240
; IeeeMode: 1
; LDSByteSize: 1296 bytes/workgroup (compile time only)
; SGPRBlocks: 2
; VGPRBlocks: 0
; NumSGPRsForWavesPerEU: 19
; NumVGPRsForWavesPerEU: 6
; AccumOffset: 8
; Occupancy: 8
; WaveLimiterHint : 0
; COMPUTE_PGM_RSRC2:SCRATCH_EN: 0
; COMPUTE_PGM_RSRC2:USER_SGPR: 6
; COMPUTE_PGM_RSRC2:TRAP_HANDLER: 0
; COMPUTE_PGM_RSRC2:TGID_X_EN: 1
; COMPUTE_PGM_RSRC2:TGID_Y_EN: 0
; COMPUTE_PGM_RSRC2:TGID_Z_EN: 0
; COMPUTE_PGM_RSRC2:TIDIG_COMP_CNT: 0
; COMPUTE_PGM_RSRC3_GFX90A:ACCUM_OFFSET: 1
; COMPUTE_PGM_RSRC3_GFX90A:TG_SPLIT: 0
	.section	.text._Z27flag_heads_and_tails_kernelIxcN10test_utils13greater_equalELj510ELj1EEvPT_PxS4_,"axG",@progbits,_Z27flag_heads_and_tails_kernelIxcN10test_utils13greater_equalELj510ELj1EEvPT_PxS4_,comdat
	.protected	_Z27flag_heads_and_tails_kernelIxcN10test_utils13greater_equalELj510ELj1EEvPT_PxS4_ ; -- Begin function _Z27flag_heads_and_tails_kernelIxcN10test_utils13greater_equalELj510ELj1EEvPT_PxS4_
	.globl	_Z27flag_heads_and_tails_kernelIxcN10test_utils13greater_equalELj510ELj1EEvPT_PxS4_
	.p2align	8
	.type	_Z27flag_heads_and_tails_kernelIxcN10test_utils13greater_equalELj510ELj1EEvPT_PxS4_,@function
_Z27flag_heads_and_tails_kernelIxcN10test_utils13greater_equalELj510ELj1EEvPT_PxS4_: ; @_Z27flag_heads_and_tails_kernelIxcN10test_utils13greater_equalELj510ELj1EEvPT_PxS4_
; %bb.0:
	s_load_dwordx4 s[8:11], s[4:5], 0x0
	s_load_dwordx2 s[2:3], s[4:5], 0x10
	s_mul_i32 s12, s6, 0x1fe
	s_mov_b32 s13, 0
	s_lshl_b64 s[4:5], s[12:13], 3
	s_waitcnt lgkmcnt(0)
	s_add_u32 s0, s8, s4
	s_addc_u32 s1, s9, s5
	v_lshlrev_b32_e32 v6, 3, v0
	global_load_dwordx2 v[2:3], v6, s[0:1]
	s_and_b32 s13, s6, 3
	s_cmp_lt_i32 s13, 2
	s_cbranch_scc1 .LBB60_8
; %bb.1:
	s_cmp_gt_i32 s13, 2
	s_cbranch_scc0 .LBB60_9
; %bb.2:
	v_cmp_ne_u32_e32 vcc, 0, v0
	v_mov_b32_e32 v7, 1
	s_waitcnt vmcnt(0)
	ds_write_b64 v6, v[2:3]
	s_waitcnt lgkmcnt(0)
	s_barrier
	s_and_saveexec_b64 s[0:1], vcc
	s_cbranch_execz .LBB60_4
; %bb.3:
	v_add_u32_e32 v1, -8, v6
	ds_read_b64 v[4:5], v1
	s_waitcnt lgkmcnt(0)
	v_cmp_le_i64_e32 vcc, v[4:5], v[2:3]
	v_cndmask_b32_e64 v7, 0, 1, vcc
.LBB60_4:
	s_or_b64 exec, exec, s[0:1]
	s_movk_i32 s0, 0x1fd
	v_cmp_ne_u32_e32 vcc, s0, v0
	s_mov_b64 s[6:7], -1
	ds_write_b64 v6, v[2:3] offset:4080
	s_waitcnt lgkmcnt(0)
	s_barrier
	s_and_saveexec_b64 s[0:1], vcc
	s_cbranch_execz .LBB60_6
; %bb.5:
	ds_read_b64 v[4:5], v6 offset:4088
	s_waitcnt lgkmcnt(0)
	v_cmp_ge_i64_e32 vcc, v[4:5], v[2:3]
	s_orn2_b64 s[6:7], vcc, exec
.LBB60_6:
	s_or_b64 exec, exec, s[0:1]
.LBB60_7:
	s_cbranch_execz .LBB60_15
	s_branch .LBB60_27
.LBB60_8:
                                        ; implicit-def: $sgpr6_sgpr7
                                        ; implicit-def: $vgpr7
	s_branch .LBB60_15
.LBB60_9:
                                        ; implicit-def: $sgpr6_sgpr7
                                        ; implicit-def: $vgpr7
	s_cbranch_execz .LBB60_7
; %bb.10:
	s_add_i32 s0, s12, -1
	s_mov_b32 s1, 0
	s_lshl_b64 s[0:1], s[0:1], 3
	s_add_u32 s0, s8, s0
	s_addc_u32 s1, s9, s1
	s_load_dwordx2 s[0:1], s[0:1], 0x0
	v_cmp_ne_u32_e32 vcc, 0, v0
	s_waitcnt vmcnt(0)
	ds_write_b64 v6, v[2:3]
	s_waitcnt lgkmcnt(0)
	s_barrier
	v_pk_mov_b32 v[4:5], s[0:1], s[0:1] op_sel:[0,1]
	s_and_saveexec_b64 s[0:1], vcc
	s_cbranch_execz .LBB60_12
; %bb.11:
	v_add_u32_e32 v1, -8, v6
	ds_read_b64 v[4:5], v1
.LBB60_12:
	s_or_b64 exec, exec, s[0:1]
	s_movk_i32 s0, 0x1fd
	s_waitcnt lgkmcnt(0)
	v_cmp_le_i64_e32 vcc, v[4:5], v[2:3]
	v_cmp_ne_u32_e64 s[0:1], s0, v0
	s_mov_b64 s[6:7], -1
	ds_write_b64 v6, v[2:3] offset:4080
	s_waitcnt lgkmcnt(0)
	s_barrier
	s_and_saveexec_b64 s[14:15], s[0:1]
	s_cbranch_execz .LBB60_14
; %bb.13:
	ds_read_b64 v[4:5], v6 offset:4088
	s_waitcnt lgkmcnt(0)
	v_cmp_ge_i64_e64 s[0:1], v[4:5], v[2:3]
	s_orn2_b64 s[6:7], s[0:1], exec
.LBB60_14:
	s_or_b64 exec, exec, s[14:15]
	v_cndmask_b32_e64 v7, 0, 1, vcc
	s_cbranch_execnz .LBB60_27
.LBB60_15:
	s_cmp_eq_u32 s13, 1
	v_cmp_ne_u32_e32 vcc, 0, v0
	s_cbranch_scc1 .LBB60_21
; %bb.16:
	s_add_i32 s0, s12, 0x1fe
	s_mov_b32 s1, 0
	s_lshl_b64 s[0:1], s[0:1], 3
	s_add_u32 s0, s8, s0
	s_addc_u32 s1, s9, s1
	s_load_dwordx2 s[0:1], s[0:1], 0x0
	v_mov_b32_e32 v7, 1
	s_waitcnt vmcnt(0)
	ds_write_b64 v6, v[2:3]
	s_waitcnt lgkmcnt(0)
	s_barrier
	s_and_saveexec_b64 s[6:7], vcc
	s_cbranch_execz .LBB60_18
; %bb.17:
	v_add_u32_e32 v1, -8, v6
	ds_read_b64 v[4:5], v1
	s_waitcnt lgkmcnt(0)
	v_cmp_le_i64_e32 vcc, v[4:5], v[2:3]
	v_cndmask_b32_e64 v7, 0, 1, vcc
.LBB60_18:
	s_or_b64 exec, exec, s[6:7]
	s_movk_i32 s6, 0x1fd
	v_cmp_ne_u32_e32 vcc, s6, v0
	v_pk_mov_b32 v[4:5], s[0:1], s[0:1] op_sel:[0,1]
	ds_write_b64 v6, v[2:3] offset:4080
	s_waitcnt lgkmcnt(0)
	s_barrier
	s_and_saveexec_b64 s[0:1], vcc
	s_cbranch_execz .LBB60_20
; %bb.19:
	ds_read_b64 v[4:5], v6 offset:4088
.LBB60_20:
	s_or_b64 exec, exec, s[0:1]
	s_waitcnt lgkmcnt(0)
	v_cmp_ge_i64_e64 s[6:7], v[4:5], v[2:3]
	s_branch .LBB60_27
.LBB60_21:
                                        ; implicit-def: $sgpr6_sgpr7
                                        ; implicit-def: $vgpr7
	s_cbranch_execz .LBB60_27
; %bb.22:
	s_add_i32 s0, s12, -1
	s_mov_b32 s1, 0
	s_lshl_b64 s[6:7], s[0:1], 3
	s_add_u32 s6, s8, s6
	s_addc_u32 s7, s9, s7
	s_add_i32 s0, s12, 0x1fe
	s_lshl_b64 s[0:1], s[0:1], 3
	s_add_u32 s8, s8, s0
	s_addc_u32 s9, s9, s1
	s_load_dwordx2 s[12:13], s[6:7], 0x0
	s_load_dwordx2 s[0:1], s[8:9], 0x0
	v_cmp_ne_u32_e32 vcc, 0, v0
	s_waitcnt vmcnt(0)
	ds_write_b64 v6, v[2:3]
	s_waitcnt lgkmcnt(0)
	v_pk_mov_b32 v[4:5], s[12:13], s[12:13] op_sel:[0,1]
	s_barrier
	s_and_saveexec_b64 s[6:7], vcc
	s_cbranch_execz .LBB60_24
; %bb.23:
	v_add_u32_e32 v1, -8, v6
	ds_read_b64 v[4:5], v1
.LBB60_24:
	s_or_b64 exec, exec, s[6:7]
	s_movk_i32 s6, 0x1fd
	v_cmp_ne_u32_e32 vcc, s6, v0
	v_pk_mov_b32 v[0:1], s[0:1], s[0:1] op_sel:[0,1]
	ds_write_b64 v6, v[2:3] offset:4080
	s_waitcnt lgkmcnt(0)
	s_barrier
	s_and_saveexec_b64 s[0:1], vcc
	s_cbranch_execz .LBB60_26
; %bb.25:
	ds_read_b64 v[0:1], v6 offset:4088
.LBB60_26:
	s_or_b64 exec, exec, s[0:1]
	v_cmp_le_i64_e32 vcc, v[4:5], v[2:3]
	v_cndmask_b32_e64 v7, 0, 1, vcc
	s_waitcnt lgkmcnt(0)
	v_cmp_ge_i64_e64 s[6:7], v[0:1], v[2:3]
.LBB60_27:
	s_add_u32 s0, s10, s4
	s_addc_u32 s1, s11, s5
	v_and_b32_e32 v0, 0xff, v7
	v_mov_b32_e32 v1, 0
	global_store_dwordx2 v6, v[0:1], s[0:1]
	s_add_u32 s0, s2, s4
	s_mov_b32 s2, 0
	s_addc_u32 s1, s3, s5
	v_cndmask_b32_e64 v0, 0, 1, s[6:7]
	v_mov_b32_e32 v1, s2
	global_store_dwordx2 v6, v[0:1], s[0:1]
	s_endpgm
	.section	.rodata,"a",@progbits
	.p2align	6, 0x0
	.amdhsa_kernel _Z27flag_heads_and_tails_kernelIxcN10test_utils13greater_equalELj510ELj1EEvPT_PxS4_
		.amdhsa_group_segment_fixed_size 8160
		.amdhsa_private_segment_fixed_size 0
		.amdhsa_kernarg_size 24
		.amdhsa_user_sgpr_count 6
		.amdhsa_user_sgpr_private_segment_buffer 1
		.amdhsa_user_sgpr_dispatch_ptr 0
		.amdhsa_user_sgpr_queue_ptr 0
		.amdhsa_user_sgpr_kernarg_segment_ptr 1
		.amdhsa_user_sgpr_dispatch_id 0
		.amdhsa_user_sgpr_flat_scratch_init 0
		.amdhsa_user_sgpr_kernarg_preload_length 0
		.amdhsa_user_sgpr_kernarg_preload_offset 0
		.amdhsa_user_sgpr_private_segment_size 0
		.amdhsa_uses_dynamic_stack 0
		.amdhsa_system_sgpr_private_segment_wavefront_offset 0
		.amdhsa_system_sgpr_workgroup_id_x 1
		.amdhsa_system_sgpr_workgroup_id_y 0
		.amdhsa_system_sgpr_workgroup_id_z 0
		.amdhsa_system_sgpr_workgroup_info 0
		.amdhsa_system_vgpr_workitem_id 0
		.amdhsa_next_free_vgpr 8
		.amdhsa_next_free_sgpr 16
		.amdhsa_accum_offset 8
		.amdhsa_reserve_vcc 1
		.amdhsa_reserve_flat_scratch 0
		.amdhsa_float_round_mode_32 0
		.amdhsa_float_round_mode_16_64 0
		.amdhsa_float_denorm_mode_32 3
		.amdhsa_float_denorm_mode_16_64 3
		.amdhsa_dx10_clamp 1
		.amdhsa_ieee_mode 1
		.amdhsa_fp16_overflow 0
		.amdhsa_tg_split 0
		.amdhsa_exception_fp_ieee_invalid_op 0
		.amdhsa_exception_fp_denorm_src 0
		.amdhsa_exception_fp_ieee_div_zero 0
		.amdhsa_exception_fp_ieee_overflow 0
		.amdhsa_exception_fp_ieee_underflow 0
		.amdhsa_exception_fp_ieee_inexact 0
		.amdhsa_exception_int_div_zero 0
	.end_amdhsa_kernel
	.section	.text._Z27flag_heads_and_tails_kernelIxcN10test_utils13greater_equalELj510ELj1EEvPT_PxS4_,"axG",@progbits,_Z27flag_heads_and_tails_kernelIxcN10test_utils13greater_equalELj510ELj1EEvPT_PxS4_,comdat
.Lfunc_end60:
	.size	_Z27flag_heads_and_tails_kernelIxcN10test_utils13greater_equalELj510ELj1EEvPT_PxS4_, .Lfunc_end60-_Z27flag_heads_and_tails_kernelIxcN10test_utils13greater_equalELj510ELj1EEvPT_PxS4_
                                        ; -- End function
	.section	.AMDGPU.csdata,"",@progbits
; Kernel info:
; codeLenInByte = 824
; NumSgprs: 20
; NumVgprs: 8
; NumAgprs: 0
; TotalNumVgprs: 8
; ScratchSize: 0
; MemoryBound: 0
; FloatMode: 240
; IeeeMode: 1
; LDSByteSize: 8160 bytes/workgroup (compile time only)
; SGPRBlocks: 2
; VGPRBlocks: 0
; NumSGPRsForWavesPerEU: 20
; NumVGPRsForWavesPerEU: 8
; AccumOffset: 8
; Occupancy: 8
; WaveLimiterHint : 0
; COMPUTE_PGM_RSRC2:SCRATCH_EN: 0
; COMPUTE_PGM_RSRC2:USER_SGPR: 6
; COMPUTE_PGM_RSRC2:TRAP_HANDLER: 0
; COMPUTE_PGM_RSRC2:TGID_X_EN: 1
; COMPUTE_PGM_RSRC2:TGID_Y_EN: 0
; COMPUTE_PGM_RSRC2:TGID_Z_EN: 0
; COMPUTE_PGM_RSRC2:TIDIG_COMP_CNT: 0
; COMPUTE_PGM_RSRC3_GFX90A:ACCUM_OFFSET: 1
; COMPUTE_PGM_RSRC3_GFX90A:TG_SPLIT: 0
	.section	.text._Z27flag_heads_and_tails_kernelI12hip_bfloat16iN10test_utils7greaterELj37ELj1EEvPT_PxS5_,"axG",@progbits,_Z27flag_heads_and_tails_kernelI12hip_bfloat16iN10test_utils7greaterELj37ELj1EEvPT_PxS5_,comdat
	.protected	_Z27flag_heads_and_tails_kernelI12hip_bfloat16iN10test_utils7greaterELj37ELj1EEvPT_PxS5_ ; -- Begin function _Z27flag_heads_and_tails_kernelI12hip_bfloat16iN10test_utils7greaterELj37ELj1EEvPT_PxS5_
	.globl	_Z27flag_heads_and_tails_kernelI12hip_bfloat16iN10test_utils7greaterELj37ELj1EEvPT_PxS5_
	.p2align	8
	.type	_Z27flag_heads_and_tails_kernelI12hip_bfloat16iN10test_utils7greaterELj37ELj1EEvPT_PxS5_,@function
_Z27flag_heads_and_tails_kernelI12hip_bfloat16iN10test_utils7greaterELj37ELj1EEvPT_PxS5_: ; @_Z27flag_heads_and_tails_kernelI12hip_bfloat16iN10test_utils7greaterELj37ELj1EEvPT_PxS5_
; %bb.0:
	s_load_dwordx4 s[8:11], s[4:5], 0x0
	s_load_dwordx2 s[2:3], s[4:5], 0x10
	s_mul_i32 s4, s6, 37
	s_mov_b32 s5, 0
	s_lshl_b64 s[0:1], s[4:5], 1
	s_waitcnt lgkmcnt(0)
	s_add_u32 s0, s8, s0
	s_addc_u32 s1, s9, s1
	v_lshlrev_b32_e32 v3, 1, v0
	global_load_ushort v1, v3, s[0:1]
	s_and_b32 s14, s6, 3
	s_cmp_lt_i32 s14, 2
	s_cbranch_scc1 .LBB61_8
; %bb.1:
	s_cmp_gt_i32 s14, 2
	s_cbranch_scc0 .LBB61_9
; %bb.2:
	v_cmp_ne_u32_e32 vcc, 0, v0
	v_mov_b32_e32 v2, 1
	s_waitcnt vmcnt(0)
	ds_write_b16 v3, v1
	s_waitcnt lgkmcnt(0)
	; wave barrier
	s_waitcnt lgkmcnt(0)
	s_and_saveexec_b64 s[0:1], vcc
	s_cbranch_execz .LBB61_4
; %bb.3:
	v_add_u32_e32 v2, -2, v3
	ds_read_u16 v2, v2
	v_lshlrev_b32_e32 v4, 16, v1
	s_waitcnt lgkmcnt(0)
	v_lshlrev_b32_e32 v2, 16, v2
	v_cmp_lt_f32_e32 vcc, v2, v4
	v_cndmask_b32_e64 v2, 0, 1, vcc
.LBB61_4:
	s_or_b64 exec, exec, s[0:1]
	v_cmp_ne_u32_e32 vcc, 36, v0
	s_mov_b64 s[6:7], -1
	ds_write_b16 v3, v1 offset:74
	s_waitcnt lgkmcnt(0)
	; wave barrier
	s_waitcnt lgkmcnt(0)
	s_and_saveexec_b64 s[0:1], vcc
	s_cbranch_execz .LBB61_6
; %bb.5:
	ds_read_u16 v4, v3 offset:76
	v_lshlrev_b32_e32 v5, 16, v1
	s_waitcnt lgkmcnt(0)
	v_lshlrev_b32_e32 v4, 16, v4
	v_cmp_lt_f32_e32 vcc, v5, v4
	s_orn2_b64 s[6:7], vcc, exec
.LBB61_6:
	s_or_b64 exec, exec, s[0:1]
.LBB61_7:
	s_cbranch_execz .LBB61_15
	s_branch .LBB61_27
.LBB61_8:
                                        ; implicit-def: $sgpr6_sgpr7
                                        ; implicit-def: $vgpr2
	s_branch .LBB61_15
.LBB61_9:
                                        ; implicit-def: $sgpr6_sgpr7
                                        ; implicit-def: $vgpr2
	s_cbranch_execz .LBB61_7
; %bb.10:
	s_add_i32 s0, s4, -1
	s_mov_b32 s1, 0
	s_lshl_b64 s[0:1], s[0:1], 1
	s_add_u32 s0, s8, s0
	s_addc_u32 s1, s9, s1
	v_mov_b32_e32 v2, 0
	global_load_ushort v2, v2, s[0:1]
	v_cmp_ne_u32_e32 vcc, 0, v0
	s_waitcnt vmcnt(1)
	ds_write_b16 v3, v1
	s_waitcnt lgkmcnt(0)
	; wave barrier
	s_waitcnt lgkmcnt(0)
	s_and_saveexec_b64 s[0:1], vcc
	s_cbranch_execz .LBB61_12
; %bb.11:
	s_waitcnt vmcnt(0)
	v_add_u32_e32 v2, -2, v3
	ds_read_u16 v2, v2
.LBB61_12:
	s_or_b64 exec, exec, s[0:1]
	v_lshlrev_b32_e32 v4, 16, v1
	s_waitcnt vmcnt(0) lgkmcnt(0)
	v_lshlrev_b32_e32 v2, 16, v2
	v_cmp_lt_f32_e32 vcc, v2, v4
	v_cmp_ne_u32_e64 s[0:1], 36, v0
	s_mov_b64 s[6:7], -1
	ds_write_b16 v3, v1 offset:74
	s_waitcnt lgkmcnt(0)
	; wave barrier
	s_waitcnt lgkmcnt(0)
	s_and_saveexec_b64 s[12:13], s[0:1]
	s_cbranch_execz .LBB61_14
; %bb.13:
	ds_read_u16 v2, v3 offset:76
	s_waitcnt lgkmcnt(0)
	v_lshlrev_b32_e32 v2, 16, v2
	v_cmp_lt_f32_e64 s[0:1], v4, v2
	s_orn2_b64 s[6:7], s[0:1], exec
.LBB61_14:
	s_or_b64 exec, exec, s[12:13]
	v_cndmask_b32_e64 v2, 0, 1, vcc
	s_cbranch_execnz .LBB61_27
.LBB61_15:
	s_cmp_eq_u32 s14, 1
	v_cmp_ne_u32_e32 vcc, 0, v0
	s_cbranch_scc1 .LBB61_21
; %bb.16:
	s_add_i32 s0, s4, 37
	s_mov_b32 s1, 0
	s_lshl_b64 s[0:1], s[0:1], 1
	s_add_u32 s0, s8, s0
	s_addc_u32 s1, s9, s1
	v_mov_b32_e32 v2, 0
	global_load_ushort v4, v2, s[0:1]
	v_mov_b32_e32 v2, 1
	s_waitcnt vmcnt(1)
	ds_write_b16 v3, v1
	s_waitcnt lgkmcnt(0)
	; wave barrier
	s_waitcnt lgkmcnt(0)
	s_and_saveexec_b64 s[0:1], vcc
	s_cbranch_execz .LBB61_18
; %bb.17:
	v_add_u32_e32 v2, -2, v3
	ds_read_u16 v2, v2
	v_lshlrev_b32_e32 v5, 16, v1
	s_waitcnt lgkmcnt(0)
	v_lshlrev_b32_e32 v2, 16, v2
	v_cmp_lt_f32_e32 vcc, v2, v5
	v_cndmask_b32_e64 v2, 0, 1, vcc
.LBB61_18:
	s_or_b64 exec, exec, s[0:1]
	v_cmp_ne_u32_e32 vcc, 36, v0
	ds_write_b16 v3, v1 offset:74
	s_waitcnt lgkmcnt(0)
	; wave barrier
	s_waitcnt lgkmcnt(0)
	s_and_saveexec_b64 s[0:1], vcc
	s_cbranch_execz .LBB61_20
; %bb.19:
	s_waitcnt vmcnt(0)
	ds_read_u16 v4, v3 offset:76
.LBB61_20:
	s_or_b64 exec, exec, s[0:1]
	s_waitcnt vmcnt(0) lgkmcnt(0)
	v_lshlrev_b32_e32 v4, 16, v4
	v_lshlrev_b32_e32 v5, 16, v1
	v_cmp_lt_f32_e64 s[6:7], v5, v4
	s_branch .LBB61_27
.LBB61_21:
                                        ; implicit-def: $sgpr6_sgpr7
                                        ; implicit-def: $vgpr2
	s_cbranch_execz .LBB61_27
; %bb.22:
	s_add_i32 s0, s4, -1
	s_mov_b32 s1, 0
	s_lshl_b64 s[6:7], s[0:1], 1
	s_add_u32 s6, s8, s6
	s_addc_u32 s7, s9, s7
	s_add_i32 s0, s4, 37
	s_lshl_b64 s[0:1], s[0:1], 1
	v_mov_b32_e32 v5, 0
	s_add_u32 s0, s8, s0
	s_addc_u32 s1, s9, s1
	global_load_ushort v2, v5, s[6:7]
	global_load_ushort v4, v5, s[0:1]
	v_cmp_ne_u32_e32 vcc, 0, v0
	s_waitcnt vmcnt(2)
	ds_write_b16 v3, v1
	s_waitcnt lgkmcnt(0)
	; wave barrier
	s_waitcnt lgkmcnt(0)
	s_and_saveexec_b64 s[0:1], vcc
	s_cbranch_execz .LBB61_24
; %bb.23:
	s_waitcnt vmcnt(1)
	v_add_u32_e32 v2, -2, v3
	ds_read_u16 v2, v2
.LBB61_24:
	s_or_b64 exec, exec, s[0:1]
	v_cmp_ne_u32_e32 vcc, 36, v0
	ds_write_b16 v3, v1 offset:74
	s_waitcnt lgkmcnt(0)
	; wave barrier
	s_waitcnt lgkmcnt(0)
	s_and_saveexec_b64 s[0:1], vcc
	s_cbranch_execz .LBB61_26
; %bb.25:
	s_waitcnt vmcnt(0)
	ds_read_u16 v4, v3 offset:76
.LBB61_26:
	s_or_b64 exec, exec, s[0:1]
	v_lshlrev_b32_e32 v1, 16, v1
	s_waitcnt vmcnt(1)
	v_lshlrev_b32_e32 v2, 16, v2
	v_cmp_lt_f32_e32 vcc, v2, v1
	s_waitcnt vmcnt(0) lgkmcnt(0)
	v_lshlrev_b32_e32 v3, 16, v4
	v_cndmask_b32_e64 v2, 0, 1, vcc
	v_cmp_lt_f32_e64 s[6:7], v1, v3
.LBB61_27:
	s_lshl_b64 s[0:1], s[4:5], 3
	s_add_u32 s4, s10, s0
	s_addc_u32 s5, s11, s1
	s_mov_b32 s8, 0
	s_add_u32 s0, s2, s0
	v_lshlrev_b32_e32 v4, 3, v0
	v_mov_b32_e32 v3, 0
	s_addc_u32 s1, s3, s1
	v_cndmask_b32_e64 v0, 0, 1, s[6:7]
	s_waitcnt vmcnt(0)
	v_mov_b32_e32 v1, s8
	global_store_dwordx2 v4, v[2:3], s[4:5]
	global_store_dwordx2 v4, v[0:1], s[0:1]
	s_endpgm
	.section	.rodata,"a",@progbits
	.p2align	6, 0x0
	.amdhsa_kernel _Z27flag_heads_and_tails_kernelI12hip_bfloat16iN10test_utils7greaterELj37ELj1EEvPT_PxS5_
		.amdhsa_group_segment_fixed_size 148
		.amdhsa_private_segment_fixed_size 0
		.amdhsa_kernarg_size 24
		.amdhsa_user_sgpr_count 6
		.amdhsa_user_sgpr_private_segment_buffer 1
		.amdhsa_user_sgpr_dispatch_ptr 0
		.amdhsa_user_sgpr_queue_ptr 0
		.amdhsa_user_sgpr_kernarg_segment_ptr 1
		.amdhsa_user_sgpr_dispatch_id 0
		.amdhsa_user_sgpr_flat_scratch_init 0
		.amdhsa_user_sgpr_kernarg_preload_length 0
		.amdhsa_user_sgpr_kernarg_preload_offset 0
		.amdhsa_user_sgpr_private_segment_size 0
		.amdhsa_uses_dynamic_stack 0
		.amdhsa_system_sgpr_private_segment_wavefront_offset 0
		.amdhsa_system_sgpr_workgroup_id_x 1
		.amdhsa_system_sgpr_workgroup_id_y 0
		.amdhsa_system_sgpr_workgroup_id_z 0
		.amdhsa_system_sgpr_workgroup_info 0
		.amdhsa_system_vgpr_workitem_id 0
		.amdhsa_next_free_vgpr 6
		.amdhsa_next_free_sgpr 15
		.amdhsa_accum_offset 8
		.amdhsa_reserve_vcc 1
		.amdhsa_reserve_flat_scratch 0
		.amdhsa_float_round_mode_32 0
		.amdhsa_float_round_mode_16_64 0
		.amdhsa_float_denorm_mode_32 3
		.amdhsa_float_denorm_mode_16_64 3
		.amdhsa_dx10_clamp 1
		.amdhsa_ieee_mode 1
		.amdhsa_fp16_overflow 0
		.amdhsa_tg_split 0
		.amdhsa_exception_fp_ieee_invalid_op 0
		.amdhsa_exception_fp_denorm_src 0
		.amdhsa_exception_fp_ieee_div_zero 0
		.amdhsa_exception_fp_ieee_overflow 0
		.amdhsa_exception_fp_ieee_underflow 0
		.amdhsa_exception_fp_ieee_inexact 0
		.amdhsa_exception_int_div_zero 0
	.end_amdhsa_kernel
	.section	.text._Z27flag_heads_and_tails_kernelI12hip_bfloat16iN10test_utils7greaterELj37ELj1EEvPT_PxS5_,"axG",@progbits,_Z27flag_heads_and_tails_kernelI12hip_bfloat16iN10test_utils7greaterELj37ELj1EEvPT_PxS5_,comdat
.Lfunc_end61:
	.size	_Z27flag_heads_and_tails_kernelI12hip_bfloat16iN10test_utils7greaterELj37ELj1EEvPT_PxS5_, .Lfunc_end61-_Z27flag_heads_and_tails_kernelI12hip_bfloat16iN10test_utils7greaterELj37ELj1EEvPT_PxS5_
                                        ; -- End function
	.section	.AMDGPU.csdata,"",@progbits
; Kernel info:
; codeLenInByte = 856
; NumSgprs: 19
; NumVgprs: 6
; NumAgprs: 0
; TotalNumVgprs: 6
; ScratchSize: 0
; MemoryBound: 0
; FloatMode: 240
; IeeeMode: 1
; LDSByteSize: 148 bytes/workgroup (compile time only)
; SGPRBlocks: 2
; VGPRBlocks: 0
; NumSGPRsForWavesPerEU: 19
; NumVGPRsForWavesPerEU: 6
; AccumOffset: 8
; Occupancy: 8
; WaveLimiterHint : 0
; COMPUTE_PGM_RSRC2:SCRATCH_EN: 0
; COMPUTE_PGM_RSRC2:USER_SGPR: 6
; COMPUTE_PGM_RSRC2:TRAP_HANDLER: 0
; COMPUTE_PGM_RSRC2:TGID_X_EN: 1
; COMPUTE_PGM_RSRC2:TGID_Y_EN: 0
; COMPUTE_PGM_RSRC2:TGID_Z_EN: 0
; COMPUTE_PGM_RSRC2:TIDIG_COMP_CNT: 0
; COMPUTE_PGM_RSRC3_GFX90A:ACCUM_OFFSET: 1
; COMPUTE_PGM_RSRC3_GFX90A:TG_SPLIT: 0
	.section	.text._Z27flag_heads_and_tails_kernelI6__halfiN10test_utils7greaterELj37ELj1EEvPT_PxS5_,"axG",@progbits,_Z27flag_heads_and_tails_kernelI6__halfiN10test_utils7greaterELj37ELj1EEvPT_PxS5_,comdat
	.protected	_Z27flag_heads_and_tails_kernelI6__halfiN10test_utils7greaterELj37ELj1EEvPT_PxS5_ ; -- Begin function _Z27flag_heads_and_tails_kernelI6__halfiN10test_utils7greaterELj37ELj1EEvPT_PxS5_
	.globl	_Z27flag_heads_and_tails_kernelI6__halfiN10test_utils7greaterELj37ELj1EEvPT_PxS5_
	.p2align	8
	.type	_Z27flag_heads_and_tails_kernelI6__halfiN10test_utils7greaterELj37ELj1EEvPT_PxS5_,@function
_Z27flag_heads_and_tails_kernelI6__halfiN10test_utils7greaterELj37ELj1EEvPT_PxS5_: ; @_Z27flag_heads_and_tails_kernelI6__halfiN10test_utils7greaterELj37ELj1EEvPT_PxS5_
; %bb.0:
	s_load_dwordx4 s[8:11], s[4:5], 0x0
	s_load_dwordx2 s[2:3], s[4:5], 0x10
	s_mul_i32 s4, s6, 37
	s_mov_b32 s5, 0
	s_lshl_b64 s[0:1], s[4:5], 1
	s_waitcnt lgkmcnt(0)
	s_add_u32 s0, s8, s0
	s_addc_u32 s1, s9, s1
	v_lshlrev_b32_e32 v3, 1, v0
	global_load_ushort v1, v3, s[0:1]
	s_and_b32 s14, s6, 3
	s_cmp_lt_i32 s14, 2
	s_cbranch_scc1 .LBB62_8
; %bb.1:
	s_cmp_gt_i32 s14, 2
	s_cbranch_scc0 .LBB62_9
; %bb.2:
	v_cmp_ne_u32_e32 vcc, 0, v0
	v_mov_b32_e32 v2, 1
	s_waitcnt vmcnt(0)
	ds_write_b16 v3, v1
	s_waitcnt lgkmcnt(0)
	; wave barrier
	s_waitcnt lgkmcnt(0)
	s_and_saveexec_b64 s[0:1], vcc
	s_cbranch_execz .LBB62_4
; %bb.3:
	v_add_u32_e32 v2, -2, v3
	ds_read_u16 v2, v2
	s_waitcnt lgkmcnt(0)
	v_cmp_lt_f16_e32 vcc, v2, v1
	v_cndmask_b32_e64 v2, 0, 1, vcc
.LBB62_4:
	s_or_b64 exec, exec, s[0:1]
	v_cmp_ne_u32_e32 vcc, 36, v0
	s_mov_b64 s[6:7], -1
	ds_write_b16 v3, v1 offset:74
	s_waitcnt lgkmcnt(0)
	; wave barrier
	s_waitcnt lgkmcnt(0)
	s_and_saveexec_b64 s[0:1], vcc
	s_cbranch_execz .LBB62_6
; %bb.5:
	ds_read_u16 v4, v3 offset:76
	s_waitcnt lgkmcnt(0)
	v_cmp_gt_f16_e32 vcc, v4, v1
	s_orn2_b64 s[6:7], vcc, exec
.LBB62_6:
	s_or_b64 exec, exec, s[0:1]
.LBB62_7:
	s_cbranch_execz .LBB62_15
	s_branch .LBB62_27
.LBB62_8:
                                        ; implicit-def: $sgpr6_sgpr7
                                        ; implicit-def: $vgpr2
	s_branch .LBB62_15
.LBB62_9:
                                        ; implicit-def: $sgpr6_sgpr7
                                        ; implicit-def: $vgpr2
	s_cbranch_execz .LBB62_7
; %bb.10:
	s_add_i32 s0, s4, -1
	s_mov_b32 s1, 0
	s_lshl_b64 s[0:1], s[0:1], 1
	s_add_u32 s0, s8, s0
	s_addc_u32 s1, s9, s1
	v_mov_b32_e32 v2, 0
	global_load_ushort v2, v2, s[0:1]
	v_cmp_ne_u32_e32 vcc, 0, v0
	s_waitcnt vmcnt(1)
	ds_write_b16 v3, v1
	s_waitcnt lgkmcnt(0)
	; wave barrier
	s_waitcnt lgkmcnt(0)
	s_and_saveexec_b64 s[0:1], vcc
	s_cbranch_execz .LBB62_12
; %bb.11:
	s_waitcnt vmcnt(0)
	v_add_u32_e32 v2, -2, v3
	ds_read_u16 v2, v2
.LBB62_12:
	s_or_b64 exec, exec, s[0:1]
	s_waitcnt vmcnt(0) lgkmcnt(0)
	v_cmp_lt_f16_e32 vcc, v2, v1
	v_cmp_ne_u32_e64 s[0:1], 36, v0
	s_mov_b64 s[6:7], -1
	ds_write_b16 v3, v1 offset:74
	s_waitcnt lgkmcnt(0)
	; wave barrier
	s_waitcnt lgkmcnt(0)
	s_and_saveexec_b64 s[12:13], s[0:1]
	s_cbranch_execz .LBB62_14
; %bb.13:
	ds_read_u16 v2, v3 offset:76
	s_waitcnt lgkmcnt(0)
	v_cmp_gt_f16_e64 s[0:1], v2, v1
	s_orn2_b64 s[6:7], s[0:1], exec
.LBB62_14:
	s_or_b64 exec, exec, s[12:13]
	v_cndmask_b32_e64 v2, 0, 1, vcc
	s_cbranch_execnz .LBB62_27
.LBB62_15:
	s_cmp_eq_u32 s14, 1
	v_cmp_ne_u32_e32 vcc, 0, v0
	s_cbranch_scc1 .LBB62_21
; %bb.16:
	s_add_i32 s0, s4, 37
	s_mov_b32 s1, 0
	s_lshl_b64 s[0:1], s[0:1], 1
	s_add_u32 s0, s8, s0
	s_addc_u32 s1, s9, s1
	v_mov_b32_e32 v2, 0
	global_load_ushort v4, v2, s[0:1]
	v_mov_b32_e32 v2, 1
	s_waitcnt vmcnt(1)
	ds_write_b16 v3, v1
	s_waitcnt lgkmcnt(0)
	; wave barrier
	s_waitcnt lgkmcnt(0)
	s_and_saveexec_b64 s[0:1], vcc
	s_cbranch_execz .LBB62_18
; %bb.17:
	v_add_u32_e32 v2, -2, v3
	ds_read_u16 v2, v2
	s_waitcnt lgkmcnt(0)
	v_cmp_lt_f16_e32 vcc, v2, v1
	v_cndmask_b32_e64 v2, 0, 1, vcc
.LBB62_18:
	s_or_b64 exec, exec, s[0:1]
	v_cmp_ne_u32_e32 vcc, 36, v0
	ds_write_b16 v3, v1 offset:74
	s_waitcnt lgkmcnt(0)
	; wave barrier
	s_waitcnt lgkmcnt(0)
	s_and_saveexec_b64 s[0:1], vcc
	s_cbranch_execz .LBB62_20
; %bb.19:
	s_waitcnt vmcnt(0)
	ds_read_u16 v4, v3 offset:76
.LBB62_20:
	s_or_b64 exec, exec, s[0:1]
	s_waitcnt vmcnt(0) lgkmcnt(0)
	v_cmp_gt_f16_e64 s[6:7], v4, v1
	s_branch .LBB62_27
.LBB62_21:
                                        ; implicit-def: $sgpr6_sgpr7
                                        ; implicit-def: $vgpr2
	s_cbranch_execz .LBB62_27
; %bb.22:
	s_add_i32 s0, s4, -1
	s_mov_b32 s1, 0
	s_lshl_b64 s[6:7], s[0:1], 1
	s_add_u32 s6, s8, s6
	s_addc_u32 s7, s9, s7
	s_add_i32 s0, s4, 37
	s_lshl_b64 s[0:1], s[0:1], 1
	v_mov_b32_e32 v5, 0
	s_add_u32 s0, s8, s0
	s_addc_u32 s1, s9, s1
	global_load_ushort v2, v5, s[6:7]
	global_load_ushort v4, v5, s[0:1]
	v_cmp_ne_u32_e32 vcc, 0, v0
	s_waitcnt vmcnt(2)
	ds_write_b16 v3, v1
	s_waitcnt lgkmcnt(0)
	; wave barrier
	s_waitcnt lgkmcnt(0)
	s_and_saveexec_b64 s[0:1], vcc
	s_cbranch_execz .LBB62_24
; %bb.23:
	s_waitcnt vmcnt(1)
	v_add_u32_e32 v2, -2, v3
	ds_read_u16 v2, v2
.LBB62_24:
	s_or_b64 exec, exec, s[0:1]
	v_cmp_ne_u32_e32 vcc, 36, v0
	ds_write_b16 v3, v1 offset:74
	s_waitcnt lgkmcnt(0)
	; wave barrier
	s_waitcnt lgkmcnt(0)
	s_and_saveexec_b64 s[0:1], vcc
	s_cbranch_execz .LBB62_26
; %bb.25:
	s_waitcnt vmcnt(0)
	ds_read_u16 v4, v3 offset:76
.LBB62_26:
	s_or_b64 exec, exec, s[0:1]
	s_waitcnt vmcnt(1)
	v_cmp_lt_f16_e32 vcc, v2, v1
	v_cndmask_b32_e64 v2, 0, 1, vcc
	s_waitcnt vmcnt(0) lgkmcnt(0)
	v_cmp_gt_f16_e64 s[6:7], v4, v1
.LBB62_27:
	s_lshl_b64 s[0:1], s[4:5], 3
	s_add_u32 s4, s10, s0
	s_addc_u32 s5, s11, s1
	s_mov_b32 s8, 0
	s_add_u32 s0, s2, s0
	v_lshlrev_b32_e32 v4, 3, v0
	v_mov_b32_e32 v3, 0
	s_addc_u32 s1, s3, s1
	v_cndmask_b32_e64 v0, 0, 1, s[6:7]
	s_waitcnt vmcnt(0)
	v_mov_b32_e32 v1, s8
	global_store_dwordx2 v4, v[2:3], s[4:5]
	global_store_dwordx2 v4, v[0:1], s[0:1]
	s_endpgm
	.section	.rodata,"a",@progbits
	.p2align	6, 0x0
	.amdhsa_kernel _Z27flag_heads_and_tails_kernelI6__halfiN10test_utils7greaterELj37ELj1EEvPT_PxS5_
		.amdhsa_group_segment_fixed_size 148
		.amdhsa_private_segment_fixed_size 0
		.amdhsa_kernarg_size 24
		.amdhsa_user_sgpr_count 6
		.amdhsa_user_sgpr_private_segment_buffer 1
		.amdhsa_user_sgpr_dispatch_ptr 0
		.amdhsa_user_sgpr_queue_ptr 0
		.amdhsa_user_sgpr_kernarg_segment_ptr 1
		.amdhsa_user_sgpr_dispatch_id 0
		.amdhsa_user_sgpr_flat_scratch_init 0
		.amdhsa_user_sgpr_kernarg_preload_length 0
		.amdhsa_user_sgpr_kernarg_preload_offset 0
		.amdhsa_user_sgpr_private_segment_size 0
		.amdhsa_uses_dynamic_stack 0
		.amdhsa_system_sgpr_private_segment_wavefront_offset 0
		.amdhsa_system_sgpr_workgroup_id_x 1
		.amdhsa_system_sgpr_workgroup_id_y 0
		.amdhsa_system_sgpr_workgroup_id_z 0
		.amdhsa_system_sgpr_workgroup_info 0
		.amdhsa_system_vgpr_workitem_id 0
		.amdhsa_next_free_vgpr 6
		.amdhsa_next_free_sgpr 15
		.amdhsa_accum_offset 8
		.amdhsa_reserve_vcc 1
		.amdhsa_reserve_flat_scratch 0
		.amdhsa_float_round_mode_32 0
		.amdhsa_float_round_mode_16_64 0
		.amdhsa_float_denorm_mode_32 3
		.amdhsa_float_denorm_mode_16_64 3
		.amdhsa_dx10_clamp 1
		.amdhsa_ieee_mode 1
		.amdhsa_fp16_overflow 0
		.amdhsa_tg_split 0
		.amdhsa_exception_fp_ieee_invalid_op 0
		.amdhsa_exception_fp_denorm_src 0
		.amdhsa_exception_fp_ieee_div_zero 0
		.amdhsa_exception_fp_ieee_overflow 0
		.amdhsa_exception_fp_ieee_underflow 0
		.amdhsa_exception_fp_ieee_inexact 0
		.amdhsa_exception_int_div_zero 0
	.end_amdhsa_kernel
	.section	.text._Z27flag_heads_and_tails_kernelI6__halfiN10test_utils7greaterELj37ELj1EEvPT_PxS5_,"axG",@progbits,_Z27flag_heads_and_tails_kernelI6__halfiN10test_utils7greaterELj37ELj1EEvPT_PxS5_,comdat
.Lfunc_end62:
	.size	_Z27flag_heads_and_tails_kernelI6__halfiN10test_utils7greaterELj37ELj1EEvPT_PxS5_, .Lfunc_end62-_Z27flag_heads_and_tails_kernelI6__halfiN10test_utils7greaterELj37ELj1EEvPT_PxS5_
                                        ; -- End function
	.section	.AMDGPU.csdata,"",@progbits
; Kernel info:
; codeLenInByte = 800
; NumSgprs: 19
; NumVgprs: 6
; NumAgprs: 0
; TotalNumVgprs: 6
; ScratchSize: 0
; MemoryBound: 0
; FloatMode: 240
; IeeeMode: 1
; LDSByteSize: 148 bytes/workgroup (compile time only)
; SGPRBlocks: 2
; VGPRBlocks: 0
; NumSGPRsForWavesPerEU: 19
; NumVGPRsForWavesPerEU: 6
; AccumOffset: 8
; Occupancy: 8
; WaveLimiterHint : 0
; COMPUTE_PGM_RSRC2:SCRATCH_EN: 0
; COMPUTE_PGM_RSRC2:USER_SGPR: 6
; COMPUTE_PGM_RSRC2:TRAP_HANDLER: 0
; COMPUTE_PGM_RSRC2:TGID_X_EN: 1
; COMPUTE_PGM_RSRC2:TGID_Y_EN: 0
; COMPUTE_PGM_RSRC2:TGID_Z_EN: 0
; COMPUTE_PGM_RSRC2:TIDIG_COMP_CNT: 0
; COMPUTE_PGM_RSRC3_GFX90A:ACCUM_OFFSET: 1
; COMPUTE_PGM_RSRC3_GFX90A:TG_SPLIT: 0
	.section	.text._Z27flag_heads_and_tails_kernelIfi15custom_flag_op1IfELj37ELj1EEvPT_PxS4_,"axG",@progbits,_Z27flag_heads_and_tails_kernelIfi15custom_flag_op1IfELj37ELj1EEvPT_PxS4_,comdat
	.protected	_Z27flag_heads_and_tails_kernelIfi15custom_flag_op1IfELj37ELj1EEvPT_PxS4_ ; -- Begin function _Z27flag_heads_and_tails_kernelIfi15custom_flag_op1IfELj37ELj1EEvPT_PxS4_
	.globl	_Z27flag_heads_and_tails_kernelIfi15custom_flag_op1IfELj37ELj1EEvPT_PxS4_
	.p2align	8
	.type	_Z27flag_heads_and_tails_kernelIfi15custom_flag_op1IfELj37ELj1EEvPT_PxS4_,@function
_Z27flag_heads_and_tails_kernelIfi15custom_flag_op1IfELj37ELj1EEvPT_PxS4_: ; @_Z27flag_heads_and_tails_kernelIfi15custom_flag_op1IfELj37ELj1EEvPT_PxS4_
; %bb.0:
	s_load_dwordx4 s[0:3], s[4:5], 0x0
	s_load_dwordx2 s[8:9], s[4:5], 0x10
	s_mul_i32 s4, s6, 37
	s_mov_b32 s5, 0
	s_lshl_b64 s[10:11], s[4:5], 2
	s_waitcnt lgkmcnt(0)
	s_add_u32 s10, s0, s10
	s_addc_u32 s11, s1, s11
	v_lshlrev_b32_e32 v3, 2, v0
	global_load_dword v1, v3, s[10:11]
	s_and_b32 s14, s6, 3
	s_cmp_lt_i32 s14, 2
	s_cbranch_scc1 .LBB63_12
; %bb.1:
	s_cmp_gt_i32 s14, 2
	s_cbranch_scc0 .LBB63_13
; %bb.2:
	v_cmp_ne_u32_e32 vcc, 0, v0
	v_mov_b32_e32 v2, 1
	s_waitcnt vmcnt(0)
	ds_write_b32 v3, v1
	s_waitcnt lgkmcnt(0)
	; wave barrier
	s_waitcnt lgkmcnt(0)
	s_and_saveexec_b64 s[6:7], vcc
	s_cbranch_execz .LBB63_6
; %bb.3:
	v_add_u32_e32 v2, -4, v3
	ds_read_b32 v2, v2
	s_waitcnt lgkmcnt(0)
	v_cmp_neq_f32_e32 vcc, v2, v1
	v_mov_b32_e32 v2, 1
	s_and_saveexec_b64 s[10:11], vcc
; %bb.4:
	v_mul_lo_u16_e32 v2, 0xcccd, v0
	v_lshlrev_b16_e32 v4, 15, v2
	v_lshrrev_b16_e32 v2, 1, v2
	v_or_b32_e32 v2, v2, v4
	s_movk_i32 s12, 0x199a
	v_cmp_gt_u16_e32 vcc, s12, v2
	v_cndmask_b32_e64 v2, 0, 1, vcc
; %bb.5:
	s_or_b64 exec, exec, s[10:11]
.LBB63_6:
	s_or_b64 exec, exec, s[6:7]
	v_cmp_ne_u32_e32 vcc, 36, v0
	s_mov_b64 s[6:7], -1
	ds_write_b32 v3, v1 offset:148
	s_waitcnt lgkmcnt(0)
	; wave barrier
	s_waitcnt lgkmcnt(0)
	s_and_saveexec_b64 s[10:11], vcc
	s_cbranch_execz .LBB63_10
; %bb.7:
	ds_read_b32 v4, v3 offset:152
	s_mov_b64 s[12:13], -1
	s_waitcnt lgkmcnt(0)
	v_cmp_neq_f32_e32 vcc, v4, v1
	s_and_saveexec_b64 s[6:7], vcc
; %bb.8:
	s_movk_i32 s12, 0xcccd
	v_mad_legacy_u16 v4, v0, s12, s12
	v_lshlrev_b16_e32 v5, 15, v4
	v_lshrrev_b16_e32 v4, 1, v4
	v_or_b32_e32 v4, v4, v5
	s_movk_i32 s12, 0x199a
	v_cmp_gt_u16_e32 vcc, s12, v4
	s_orn2_b64 s[12:13], vcc, exec
; %bb.9:
	s_or_b64 exec, exec, s[6:7]
	s_orn2_b64 s[6:7], s[12:13], exec
.LBB63_10:
	s_or_b64 exec, exec, s[10:11]
.LBB63_11:
	s_cbranch_execz .LBB63_23
	s_branch .LBB63_43
.LBB63_12:
                                        ; implicit-def: $sgpr6_sgpr7
                                        ; implicit-def: $vgpr2
	s_branch .LBB63_23
.LBB63_13:
                                        ; implicit-def: $sgpr6_sgpr7
                                        ; implicit-def: $vgpr2
	s_cbranch_execz .LBB63_11
; %bb.14:
	s_add_i32 s6, s4, -1
	s_mov_b32 s7, 0
	s_lshl_b64 s[6:7], s[6:7], 2
	s_add_u32 s6, s0, s6
	s_addc_u32 s7, s1, s7
	s_load_dword s6, s[6:7], 0x0
	v_cmp_ne_u32_e32 vcc, 0, v0
	s_waitcnt vmcnt(0)
	ds_write_b32 v3, v1
	s_waitcnt lgkmcnt(0)
	; wave barrier
	s_waitcnt lgkmcnt(0)
	v_mov_b32_e32 v2, s6
	s_and_saveexec_b64 s[6:7], vcc
	s_cbranch_execz .LBB63_16
; %bb.15:
	v_add_u32_e32 v2, -4, v3
	ds_read_b32 v2, v2
.LBB63_16:
	s_or_b64 exec, exec, s[6:7]
	s_waitcnt lgkmcnt(0)
	v_cmp_neq_f32_e32 vcc, v2, v1
	v_mov_b32_e32 v2, 1
	s_and_saveexec_b64 s[6:7], vcc
; %bb.17:
	v_mul_lo_u16_e32 v2, 0xcccd, v0
	v_lshlrev_b16_e32 v4, 15, v2
	v_lshrrev_b16_e32 v2, 1, v2
	v_or_b32_e32 v2, v2, v4
	s_movk_i32 s10, 0x199a
	v_cmp_gt_u16_e32 vcc, s10, v2
	v_cndmask_b32_e64 v2, 0, 1, vcc
; %bb.18:
	s_or_b64 exec, exec, s[6:7]
	v_cmp_ne_u32_e32 vcc, 36, v0
	s_mov_b64 s[6:7], -1
	ds_write_b32 v3, v1 offset:148
	s_waitcnt lgkmcnt(0)
	; wave barrier
	s_waitcnt lgkmcnt(0)
	s_and_saveexec_b64 s[10:11], vcc
	s_cbranch_execz .LBB63_22
; %bb.19:
	ds_read_b32 v4, v3 offset:152
	s_mov_b64 s[12:13], -1
	s_waitcnt lgkmcnt(0)
	v_cmp_neq_f32_e32 vcc, v4, v1
	s_and_saveexec_b64 s[6:7], vcc
; %bb.20:
	s_movk_i32 s12, 0xcccd
	v_mad_legacy_u16 v4, v0, s12, s12
	v_lshlrev_b16_e32 v5, 15, v4
	v_lshrrev_b16_e32 v4, 1, v4
	v_or_b32_e32 v4, v4, v5
	s_movk_i32 s12, 0x199a
	v_cmp_gt_u16_e32 vcc, s12, v4
	s_orn2_b64 s[12:13], vcc, exec
; %bb.21:
	s_or_b64 exec, exec, s[6:7]
	s_orn2_b64 s[6:7], s[12:13], exec
.LBB63_22:
	s_or_b64 exec, exec, s[10:11]
	s_cbranch_execnz .LBB63_43
.LBB63_23:
	s_cmp_eq_u32 s14, 1
	v_cmp_ne_u32_e32 vcc, 0, v0
	s_cbranch_scc1 .LBB63_33
; %bb.24:
	s_add_i32 s6, s4, 37
	s_mov_b32 s7, 0
	s_lshl_b64 s[6:7], s[6:7], 2
	s_add_u32 s6, s0, s6
	s_addc_u32 s7, s1, s7
	s_load_dword s12, s[6:7], 0x0
	v_mov_b32_e32 v2, 1
	s_waitcnt vmcnt(0)
	ds_write_b32 v3, v1
	s_waitcnt lgkmcnt(0)
	; wave barrier
	s_waitcnt lgkmcnt(0)
	s_and_saveexec_b64 s[6:7], vcc
	s_cbranch_execz .LBB63_28
; %bb.25:
	v_add_u32_e32 v2, -4, v3
	ds_read_b32 v2, v2
	s_waitcnt lgkmcnt(0)
	v_cmp_neq_f32_e32 vcc, v2, v1
	v_mov_b32_e32 v2, 1
	s_and_saveexec_b64 s[10:11], vcc
; %bb.26:
	v_mul_lo_u16_e32 v2, 0xcccd, v0
	v_lshlrev_b16_e32 v4, 15, v2
	v_lshrrev_b16_e32 v2, 1, v2
	v_or_b32_e32 v2, v2, v4
	s_movk_i32 s13, 0x199a
	v_cmp_gt_u16_e32 vcc, s13, v2
	v_cndmask_b32_e64 v2, 0, 1, vcc
; %bb.27:
	s_or_b64 exec, exec, s[10:11]
.LBB63_28:
	s_or_b64 exec, exec, s[6:7]
	v_cmp_ne_u32_e32 vcc, 36, v0
	v_mov_b32_e32 v4, s12
	ds_write_b32 v3, v1 offset:148
	s_waitcnt lgkmcnt(0)
	; wave barrier
	s_waitcnt lgkmcnt(0)
	s_and_saveexec_b64 s[6:7], vcc
	s_cbranch_execz .LBB63_30
; %bb.29:
	ds_read_b32 v4, v3 offset:152
.LBB63_30:
	s_or_b64 exec, exec, s[6:7]
	s_waitcnt lgkmcnt(0)
	v_cmp_neq_f32_e32 vcc, v4, v1
	s_mov_b64 s[6:7], -1
	s_and_saveexec_b64 s[10:11], vcc
; %bb.31:
	s_movk_i32 s6, 0xcccd
	v_mad_legacy_u16 v4, v0, s6, s6
	v_lshlrev_b16_e32 v5, 15, v4
	v_lshrrev_b16_e32 v4, 1, v4
	v_or_b32_e32 v4, v4, v5
	s_movk_i32 s6, 0x199a
	v_cmp_gt_u16_e32 vcc, s6, v4
	s_orn2_b64 s[6:7], vcc, exec
; %bb.32:
	s_or_b64 exec, exec, s[10:11]
	s_branch .LBB63_43
.LBB63_33:
                                        ; implicit-def: $sgpr6_sgpr7
                                        ; implicit-def: $vgpr2
	s_cbranch_execz .LBB63_43
; %bb.34:
	s_add_i32 s6, s4, -1
	s_mov_b32 s7, 0
	s_lshl_b64 s[10:11], s[6:7], 2
	s_add_u32 s10, s0, s10
	s_addc_u32 s11, s1, s11
	s_add_i32 s6, s4, 37
	s_lshl_b64 s[6:7], s[6:7], 2
	s_add_u32 s0, s0, s6
	s_addc_u32 s1, s1, s7
	s_load_dword s7, s[10:11], 0x0
	s_load_dword s6, s[0:1], 0x0
	v_cmp_ne_u32_e32 vcc, 0, v0
	s_waitcnt vmcnt(0)
	ds_write_b32 v3, v1
	s_waitcnt lgkmcnt(0)
	v_mov_b32_e32 v2, s7
	; wave barrier
	s_and_saveexec_b64 s[0:1], vcc
	s_cbranch_execz .LBB63_36
; %bb.35:
	v_add_u32_e32 v2, -4, v3
	ds_read_b32 v2, v2
.LBB63_36:
	s_or_b64 exec, exec, s[0:1]
	s_waitcnt lgkmcnt(0)
	v_cmp_neq_f32_e32 vcc, v2, v1
	v_mov_b32_e32 v2, 1
	s_and_saveexec_b64 s[0:1], vcc
; %bb.37:
	v_mul_lo_u16_e32 v2, 0xcccd, v0
	v_lshlrev_b16_e32 v4, 15, v2
	v_lshrrev_b16_e32 v2, 1, v2
	v_or_b32_e32 v2, v2, v4
	s_movk_i32 s7, 0x199a
	v_cmp_gt_u16_e32 vcc, s7, v2
	v_cndmask_b32_e64 v2, 0, 1, vcc
; %bb.38:
	s_or_b64 exec, exec, s[0:1]
	v_cmp_ne_u32_e32 vcc, 36, v0
	v_mov_b32_e32 v4, s6
	ds_write_b32 v3, v1 offset:148
	s_waitcnt lgkmcnt(0)
	; wave barrier
	s_waitcnt lgkmcnt(0)
	s_and_saveexec_b64 s[0:1], vcc
	s_cbranch_execz .LBB63_40
; %bb.39:
	ds_read_b32 v4, v3 offset:152
.LBB63_40:
	s_or_b64 exec, exec, s[0:1]
	s_waitcnt lgkmcnt(0)
	v_cmp_neq_f32_e32 vcc, v4, v1
	s_mov_b64 s[6:7], -1
	s_and_saveexec_b64 s[0:1], vcc
; %bb.41:
	s_movk_i32 s6, 0xcccd
	v_mad_legacy_u16 v1, v0, s6, s6
	v_lshlrev_b16_e32 v3, 15, v1
	v_lshrrev_b16_e32 v1, 1, v1
	v_or_b32_e32 v1, v1, v3
	s_movk_i32 s6, 0x199a
	v_cmp_gt_u16_e32 vcc, s6, v1
	s_orn2_b64 s[6:7], vcc, exec
; %bb.42:
	s_or_b64 exec, exec, s[0:1]
.LBB63_43:
	s_lshl_b64 s[0:1], s[4:5], 3
	s_add_u32 s2, s2, s0
	s_addc_u32 s3, s3, s1
	s_mov_b32 s4, 0
	s_add_u32 s0, s8, s0
	v_lshlrev_b32_e32 v4, 3, v0
	v_mov_b32_e32 v3, 0
	s_addc_u32 s1, s9, s1
	v_cndmask_b32_e64 v0, 0, 1, s[6:7]
	s_waitcnt vmcnt(0)
	v_mov_b32_e32 v1, s4
	global_store_dwordx2 v4, v[2:3], s[2:3]
	global_store_dwordx2 v4, v[0:1], s[0:1]
	s_endpgm
	.section	.rodata,"a",@progbits
	.p2align	6, 0x0
	.amdhsa_kernel _Z27flag_heads_and_tails_kernelIfi15custom_flag_op1IfELj37ELj1EEvPT_PxS4_
		.amdhsa_group_segment_fixed_size 296
		.amdhsa_private_segment_fixed_size 0
		.amdhsa_kernarg_size 24
		.amdhsa_user_sgpr_count 6
		.amdhsa_user_sgpr_private_segment_buffer 1
		.amdhsa_user_sgpr_dispatch_ptr 0
		.amdhsa_user_sgpr_queue_ptr 0
		.amdhsa_user_sgpr_kernarg_segment_ptr 1
		.amdhsa_user_sgpr_dispatch_id 0
		.amdhsa_user_sgpr_flat_scratch_init 0
		.amdhsa_user_sgpr_kernarg_preload_length 0
		.amdhsa_user_sgpr_kernarg_preload_offset 0
		.amdhsa_user_sgpr_private_segment_size 0
		.amdhsa_uses_dynamic_stack 0
		.amdhsa_system_sgpr_private_segment_wavefront_offset 0
		.amdhsa_system_sgpr_workgroup_id_x 1
		.amdhsa_system_sgpr_workgroup_id_y 0
		.amdhsa_system_sgpr_workgroup_id_z 0
		.amdhsa_system_sgpr_workgroup_info 0
		.amdhsa_system_vgpr_workitem_id 0
		.amdhsa_next_free_vgpr 6
		.amdhsa_next_free_sgpr 15
		.amdhsa_accum_offset 8
		.amdhsa_reserve_vcc 1
		.amdhsa_reserve_flat_scratch 0
		.amdhsa_float_round_mode_32 0
		.amdhsa_float_round_mode_16_64 0
		.amdhsa_float_denorm_mode_32 3
		.amdhsa_float_denorm_mode_16_64 3
		.amdhsa_dx10_clamp 1
		.amdhsa_ieee_mode 1
		.amdhsa_fp16_overflow 0
		.amdhsa_tg_split 0
		.amdhsa_exception_fp_ieee_invalid_op 0
		.amdhsa_exception_fp_denorm_src 0
		.amdhsa_exception_fp_ieee_div_zero 0
		.amdhsa_exception_fp_ieee_overflow 0
		.amdhsa_exception_fp_ieee_underflow 0
		.amdhsa_exception_fp_ieee_inexact 0
		.amdhsa_exception_int_div_zero 0
	.end_amdhsa_kernel
	.section	.text._Z27flag_heads_and_tails_kernelIfi15custom_flag_op1IfELj37ELj1EEvPT_PxS4_,"axG",@progbits,_Z27flag_heads_and_tails_kernelIfi15custom_flag_op1IfELj37ELj1EEvPT_PxS4_,comdat
.Lfunc_end63:
	.size	_Z27flag_heads_and_tails_kernelIfi15custom_flag_op1IfELj37ELj1EEvPT_PxS4_, .Lfunc_end63-_Z27flag_heads_and_tails_kernelIfi15custom_flag_op1IfELj37ELj1EEvPT_PxS4_
                                        ; -- End function
	.section	.AMDGPU.csdata,"",@progbits
; Kernel info:
; codeLenInByte = 1120
; NumSgprs: 19
; NumVgprs: 6
; NumAgprs: 0
; TotalNumVgprs: 6
; ScratchSize: 0
; MemoryBound: 0
; FloatMode: 240
; IeeeMode: 1
; LDSByteSize: 296 bytes/workgroup (compile time only)
; SGPRBlocks: 2
; VGPRBlocks: 0
; NumSGPRsForWavesPerEU: 19
; NumVGPRsForWavesPerEU: 6
; AccumOffset: 8
; Occupancy: 8
; WaveLimiterHint : 0
; COMPUTE_PGM_RSRC2:SCRATCH_EN: 0
; COMPUTE_PGM_RSRC2:USER_SGPR: 6
; COMPUTE_PGM_RSRC2:TRAP_HANDLER: 0
; COMPUTE_PGM_RSRC2:TGID_X_EN: 1
; COMPUTE_PGM_RSRC2:TGID_Y_EN: 0
; COMPUTE_PGM_RSRC2:TGID_Z_EN: 0
; COMPUTE_PGM_RSRC2:TIDIG_COMP_CNT: 0
; COMPUTE_PGM_RSRC3_GFX90A:ACCUM_OFFSET: 1
; COMPUTE_PGM_RSRC3_GFX90A:TG_SPLIT: 0
	.section	.text._Z27flag_heads_and_tails_kernelIdjN10test_utils7greaterELj65ELj1EEvPT_PxS4_,"axG",@progbits,_Z27flag_heads_and_tails_kernelIdjN10test_utils7greaterELj65ELj1EEvPT_PxS4_,comdat
	.protected	_Z27flag_heads_and_tails_kernelIdjN10test_utils7greaterELj65ELj1EEvPT_PxS4_ ; -- Begin function _Z27flag_heads_and_tails_kernelIdjN10test_utils7greaterELj65ELj1EEvPT_PxS4_
	.globl	_Z27flag_heads_and_tails_kernelIdjN10test_utils7greaterELj65ELj1EEvPT_PxS4_
	.p2align	8
	.type	_Z27flag_heads_and_tails_kernelIdjN10test_utils7greaterELj65ELj1EEvPT_PxS4_,@function
_Z27flag_heads_and_tails_kernelIdjN10test_utils7greaterELj65ELj1EEvPT_PxS4_: ; @_Z27flag_heads_and_tails_kernelIdjN10test_utils7greaterELj65ELj1EEvPT_PxS4_
; %bb.0:
	s_load_dwordx4 s[8:11], s[4:5], 0x0
	s_load_dwordx2 s[2:3], s[4:5], 0x10
	s_mul_i32 s12, s6, 0x41
	s_mov_b32 s13, 0
	s_lshl_b64 s[4:5], s[12:13], 3
	s_waitcnt lgkmcnt(0)
	s_add_u32 s0, s8, s4
	s_addc_u32 s1, s9, s5
	v_lshlrev_b32_e32 v8, 3, v0
	global_load_dwordx2 v[2:3], v8, s[0:1]
	s_and_b32 s13, s6, 3
	s_cmp_lt_i32 s13, 2
	s_cbranch_scc1 .LBB64_8
; %bb.1:
	s_cmp_gt_i32 s13, 2
	s_cbranch_scc0 .LBB64_9
; %bb.2:
	v_cmp_ne_u32_e32 vcc, 0, v0
	v_mov_b32_e32 v4, 1
	s_waitcnt vmcnt(0)
	ds_write_b64 v8, v[2:3]
	s_waitcnt lgkmcnt(0)
	s_barrier
	s_and_saveexec_b64 s[0:1], vcc
	s_cbranch_execz .LBB64_4
; %bb.3:
	v_add_u32_e32 v1, -8, v8
	ds_read_b64 v[4:5], v1
	s_waitcnt lgkmcnt(0)
	v_cmp_lt_f64_e32 vcc, v[4:5], v[2:3]
	v_cndmask_b32_e64 v4, 0, 1, vcc
.LBB64_4:
	s_or_b64 exec, exec, s[0:1]
	v_cmp_ne_u32_e32 vcc, 64, v0
	s_mov_b64 s[6:7], -1
	ds_write_b64 v8, v[2:3] offset:520
	s_waitcnt lgkmcnt(0)
	s_barrier
	s_and_saveexec_b64 s[0:1], vcc
	s_cbranch_execz .LBB64_6
; %bb.5:
	ds_read_b64 v[6:7], v8 offset:528
	s_waitcnt lgkmcnt(0)
	v_cmp_gt_f64_e32 vcc, v[6:7], v[2:3]
	s_orn2_b64 s[6:7], vcc, exec
.LBB64_6:
	s_or_b64 exec, exec, s[0:1]
.LBB64_7:
	s_cbranch_execz .LBB64_15
	s_branch .LBB64_27
.LBB64_8:
                                        ; implicit-def: $sgpr6_sgpr7
                                        ; implicit-def: $vgpr4
	s_branch .LBB64_15
.LBB64_9:
                                        ; implicit-def: $sgpr6_sgpr7
                                        ; implicit-def: $vgpr4
	s_cbranch_execz .LBB64_7
; %bb.10:
	s_add_i32 s0, s12, -1
	s_mov_b32 s1, 0
	s_lshl_b64 s[0:1], s[0:1], 3
	s_add_u32 s0, s8, s0
	s_addc_u32 s1, s9, s1
	s_load_dwordx2 s[0:1], s[0:1], 0x0
	v_cmp_ne_u32_e32 vcc, 0, v0
	s_waitcnt vmcnt(0)
	ds_write_b64 v8, v[2:3]
	s_waitcnt lgkmcnt(0)
	s_barrier
	v_pk_mov_b32 v[4:5], s[0:1], s[0:1] op_sel:[0,1]
	s_and_saveexec_b64 s[0:1], vcc
	s_cbranch_execz .LBB64_12
; %bb.11:
	v_add_u32_e32 v1, -8, v8
	ds_read_b64 v[4:5], v1
.LBB64_12:
	s_or_b64 exec, exec, s[0:1]
	s_waitcnt lgkmcnt(0)
	v_cmp_lt_f64_e32 vcc, v[4:5], v[2:3]
	v_cmp_ne_u32_e64 s[0:1], 64, v0
	s_mov_b64 s[6:7], -1
	ds_write_b64 v8, v[2:3] offset:520
	s_waitcnt lgkmcnt(0)
	s_barrier
	s_and_saveexec_b64 s[14:15], s[0:1]
	s_cbranch_execz .LBB64_14
; %bb.13:
	ds_read_b64 v[4:5], v8 offset:528
	s_waitcnt lgkmcnt(0)
	v_cmp_gt_f64_e64 s[0:1], v[4:5], v[2:3]
	s_orn2_b64 s[6:7], s[0:1], exec
.LBB64_14:
	s_or_b64 exec, exec, s[14:15]
	v_cndmask_b32_e64 v4, 0, 1, vcc
	s_cbranch_execnz .LBB64_27
.LBB64_15:
	s_cmp_eq_u32 s13, 1
	v_cmp_ne_u32_e32 vcc, 0, v0
	s_cbranch_scc1 .LBB64_21
; %bb.16:
	s_add_i32 s0, s12, 0x41
	s_mov_b32 s1, 0
	s_lshl_b64 s[0:1], s[0:1], 3
	s_add_u32 s0, s8, s0
	s_addc_u32 s1, s9, s1
	s_load_dwordx2 s[0:1], s[0:1], 0x0
	v_mov_b32_e32 v4, 1
	s_waitcnt vmcnt(0)
	ds_write_b64 v8, v[2:3]
	s_waitcnt lgkmcnt(0)
	s_barrier
	s_and_saveexec_b64 s[6:7], vcc
	s_cbranch_execz .LBB64_18
; %bb.17:
	v_add_u32_e32 v1, -8, v8
	ds_read_b64 v[4:5], v1
	s_waitcnt lgkmcnt(0)
	v_cmp_lt_f64_e32 vcc, v[4:5], v[2:3]
	v_cndmask_b32_e64 v4, 0, 1, vcc
.LBB64_18:
	s_or_b64 exec, exec, s[6:7]
	v_cmp_ne_u32_e32 vcc, 64, v0
	v_pk_mov_b32 v[6:7], s[0:1], s[0:1] op_sel:[0,1]
	ds_write_b64 v8, v[2:3] offset:520
	s_waitcnt lgkmcnt(0)
	s_barrier
	s_and_saveexec_b64 s[0:1], vcc
	s_cbranch_execz .LBB64_20
; %bb.19:
	ds_read_b64 v[6:7], v8 offset:528
.LBB64_20:
	s_or_b64 exec, exec, s[0:1]
	s_waitcnt lgkmcnt(0)
	v_cmp_gt_f64_e64 s[6:7], v[6:7], v[2:3]
	s_branch .LBB64_27
.LBB64_21:
                                        ; implicit-def: $sgpr6_sgpr7
                                        ; implicit-def: $vgpr4
	s_cbranch_execz .LBB64_27
; %bb.22:
	s_add_i32 s0, s12, -1
	s_mov_b32 s1, 0
	s_lshl_b64 s[6:7], s[0:1], 3
	s_add_u32 s6, s8, s6
	s_addc_u32 s7, s9, s7
	s_add_i32 s0, s12, 0x41
	s_lshl_b64 s[0:1], s[0:1], 3
	s_add_u32 s8, s8, s0
	s_addc_u32 s9, s9, s1
	s_load_dwordx2 s[12:13], s[6:7], 0x0
	s_load_dwordx2 s[0:1], s[8:9], 0x0
	v_cmp_ne_u32_e32 vcc, 0, v0
	s_waitcnt vmcnt(0)
	ds_write_b64 v8, v[2:3]
	s_waitcnt lgkmcnt(0)
	v_pk_mov_b32 v[4:5], s[12:13], s[12:13] op_sel:[0,1]
	s_barrier
	s_and_saveexec_b64 s[6:7], vcc
	s_cbranch_execz .LBB64_24
; %bb.23:
	v_add_u32_e32 v1, -8, v8
	ds_read_b64 v[4:5], v1
.LBB64_24:
	s_or_b64 exec, exec, s[6:7]
	v_cmp_ne_u32_e32 vcc, 64, v0
	v_pk_mov_b32 v[0:1], s[0:1], s[0:1] op_sel:[0,1]
	ds_write_b64 v8, v[2:3] offset:520
	s_waitcnt lgkmcnt(0)
	s_barrier
	s_and_saveexec_b64 s[0:1], vcc
	s_cbranch_execz .LBB64_26
; %bb.25:
	ds_read_b64 v[0:1], v8 offset:528
.LBB64_26:
	s_or_b64 exec, exec, s[0:1]
	v_cmp_lt_f64_e32 vcc, v[4:5], v[2:3]
	v_cndmask_b32_e64 v4, 0, 1, vcc
	s_waitcnt lgkmcnt(0)
	v_cmp_gt_f64_e64 s[6:7], v[0:1], v[2:3]
.LBB64_27:
	s_add_u32 s0, s10, s4
	s_addc_u32 s1, s11, s5
	v_mov_b32_e32 v5, 0
	s_mov_b32 s8, 0
	global_store_dwordx2 v8, v[4:5], s[0:1]
	s_add_u32 s0, s2, s4
	s_addc_u32 s1, s3, s5
	v_cndmask_b32_e64 v0, 0, 1, s[6:7]
	v_mov_b32_e32 v1, s8
	global_store_dwordx2 v8, v[0:1], s[0:1]
	s_endpgm
	.section	.rodata,"a",@progbits
	.p2align	6, 0x0
	.amdhsa_kernel _Z27flag_heads_and_tails_kernelIdjN10test_utils7greaterELj65ELj1EEvPT_PxS4_
		.amdhsa_group_segment_fixed_size 1040
		.amdhsa_private_segment_fixed_size 0
		.amdhsa_kernarg_size 24
		.amdhsa_user_sgpr_count 6
		.amdhsa_user_sgpr_private_segment_buffer 1
		.amdhsa_user_sgpr_dispatch_ptr 0
		.amdhsa_user_sgpr_queue_ptr 0
		.amdhsa_user_sgpr_kernarg_segment_ptr 1
		.amdhsa_user_sgpr_dispatch_id 0
		.amdhsa_user_sgpr_flat_scratch_init 0
		.amdhsa_user_sgpr_kernarg_preload_length 0
		.amdhsa_user_sgpr_kernarg_preload_offset 0
		.amdhsa_user_sgpr_private_segment_size 0
		.amdhsa_uses_dynamic_stack 0
		.amdhsa_system_sgpr_private_segment_wavefront_offset 0
		.amdhsa_system_sgpr_workgroup_id_x 1
		.amdhsa_system_sgpr_workgroup_id_y 0
		.amdhsa_system_sgpr_workgroup_id_z 0
		.amdhsa_system_sgpr_workgroup_info 0
		.amdhsa_system_vgpr_workitem_id 0
		.amdhsa_next_free_vgpr 9
		.amdhsa_next_free_sgpr 16
		.amdhsa_accum_offset 12
		.amdhsa_reserve_vcc 1
		.amdhsa_reserve_flat_scratch 0
		.amdhsa_float_round_mode_32 0
		.amdhsa_float_round_mode_16_64 0
		.amdhsa_float_denorm_mode_32 3
		.amdhsa_float_denorm_mode_16_64 3
		.amdhsa_dx10_clamp 1
		.amdhsa_ieee_mode 1
		.amdhsa_fp16_overflow 0
		.amdhsa_tg_split 0
		.amdhsa_exception_fp_ieee_invalid_op 0
		.amdhsa_exception_fp_denorm_src 0
		.amdhsa_exception_fp_ieee_div_zero 0
		.amdhsa_exception_fp_ieee_overflow 0
		.amdhsa_exception_fp_ieee_underflow 0
		.amdhsa_exception_fp_ieee_inexact 0
		.amdhsa_exception_int_div_zero 0
	.end_amdhsa_kernel
	.section	.text._Z27flag_heads_and_tails_kernelIdjN10test_utils7greaterELj65ELj1EEvPT_PxS4_,"axG",@progbits,_Z27flag_heads_and_tails_kernelIdjN10test_utils7greaterELj65ELj1EEvPT_PxS4_,comdat
.Lfunc_end64:
	.size	_Z27flag_heads_and_tails_kernelIdjN10test_utils7greaterELj65ELj1EEvPT_PxS4_, .Lfunc_end64-_Z27flag_heads_and_tails_kernelIdjN10test_utils7greaterELj65ELj1EEvPT_PxS4_
                                        ; -- End function
	.section	.AMDGPU.csdata,"",@progbits
; Kernel info:
; codeLenInByte = 800
; NumSgprs: 20
; NumVgprs: 9
; NumAgprs: 0
; TotalNumVgprs: 9
; ScratchSize: 0
; MemoryBound: 0
; FloatMode: 240
; IeeeMode: 1
; LDSByteSize: 1040 bytes/workgroup (compile time only)
; SGPRBlocks: 2
; VGPRBlocks: 1
; NumSGPRsForWavesPerEU: 20
; NumVGPRsForWavesPerEU: 9
; AccumOffset: 12
; Occupancy: 8
; WaveLimiterHint : 0
; COMPUTE_PGM_RSRC2:SCRATCH_EN: 0
; COMPUTE_PGM_RSRC2:USER_SGPR: 6
; COMPUTE_PGM_RSRC2:TRAP_HANDLER: 0
; COMPUTE_PGM_RSRC2:TGID_X_EN: 1
; COMPUTE_PGM_RSRC2:TGID_Y_EN: 0
; COMPUTE_PGM_RSRC2:TGID_Z_EN: 0
; COMPUTE_PGM_RSRC2:TIDIG_COMP_CNT: 0
; COMPUTE_PGM_RSRC3_GFX90A:ACCUM_OFFSET: 2
; COMPUTE_PGM_RSRC3_GFX90A:TG_SPLIT: 0
	.section	.text._Z27flag_heads_and_tails_kernelIib15custom_flag_op1IiELj256ELj1EEvPT_PxS4_,"axG",@progbits,_Z27flag_heads_and_tails_kernelIib15custom_flag_op1IiELj256ELj1EEvPT_PxS4_,comdat
	.protected	_Z27flag_heads_and_tails_kernelIib15custom_flag_op1IiELj256ELj1EEvPT_PxS4_ ; -- Begin function _Z27flag_heads_and_tails_kernelIib15custom_flag_op1IiELj256ELj1EEvPT_PxS4_
	.globl	_Z27flag_heads_and_tails_kernelIib15custom_flag_op1IiELj256ELj1EEvPT_PxS4_
	.p2align	8
	.type	_Z27flag_heads_and_tails_kernelIib15custom_flag_op1IiELj256ELj1EEvPT_PxS4_,@function
_Z27flag_heads_and_tails_kernelIib15custom_flag_op1IiELj256ELj1EEvPT_PxS4_: ; @_Z27flag_heads_and_tails_kernelIib15custom_flag_op1IiELj256ELj1EEvPT_PxS4_
; %bb.0:
	s_load_dwordx4 s[0:3], s[4:5], 0x0
	s_load_dwordx2 s[8:9], s[4:5], 0x10
	s_lshl_b32 s4, s6, 8
	s_mov_b32 s5, 0
	s_lshl_b64 s[10:11], s[4:5], 2
	s_waitcnt lgkmcnt(0)
	s_add_u32 s10, s0, s10
	s_addc_u32 s11, s1, s11
	v_lshlrev_b32_e32 v2, 2, v0
	global_load_dword v1, v2, s[10:11]
	s_and_b32 s16, s6, 3
	s_cmp_lt_i32 s16, 2
	s_cbranch_scc1 .LBB65_12
; %bb.1:
	s_cmp_gt_i32 s16, 2
	s_cbranch_scc0 .LBB65_13
; %bb.2:
	v_cmp_ne_u32_e32 vcc, 0, v0
	v_mov_b32_e32 v3, 1
	s_waitcnt vmcnt(0)
	ds_write_b32 v2, v1
	s_waitcnt lgkmcnt(0)
	s_barrier
	s_and_saveexec_b64 s[6:7], vcc
	s_cbranch_execz .LBB65_6
; %bb.3:
	v_add_u32_e32 v3, -4, v2
	ds_read_b32 v3, v3
	s_mov_b64 s[12:13], -1
	s_waitcnt lgkmcnt(0)
	v_cmp_ne_u32_e32 vcc, v3, v1
	s_and_saveexec_b64 s[10:11], vcc
; %bb.4:
	v_mul_lo_u16_e32 v3, 0xcccd, v0
	v_lshlrev_b16_e32 v4, 15, v3
	v_lshrrev_b16_e32 v3, 1, v3
	v_or_b32_e32 v3, v3, v4
	s_movk_i32 s12, 0x199a
	v_cmp_gt_u16_e32 vcc, s12, v3
	s_orn2_b64 s[12:13], vcc, exec
; %bb.5:
	s_or_b64 exec, exec, s[10:11]
	v_cndmask_b32_e64 v3, 0, 1, s[12:13]
.LBB65_6:
	s_or_b64 exec, exec, s[6:7]
	s_movk_i32 s6, 0xff
	v_cmp_ne_u32_e32 vcc, s6, v0
	s_mov_b64 s[6:7], -1
	ds_write_b32 v2, v1 offset:1024
	s_waitcnt lgkmcnt(0)
	s_barrier
	s_and_saveexec_b64 s[10:11], vcc
	s_cbranch_execz .LBB65_10
; %bb.7:
	ds_read_b32 v4, v2 offset:1028
	s_mov_b64 s[12:13], -1
	s_waitcnt lgkmcnt(0)
	v_cmp_ne_u32_e32 vcc, v4, v1
	s_and_saveexec_b64 s[6:7], vcc
; %bb.8:
	s_movk_i32 s12, 0xcccd
	v_mad_legacy_u16 v4, v0, s12, s12
	v_lshlrev_b16_e32 v5, 15, v4
	v_lshrrev_b16_e32 v4, 1, v4
	v_or_b32_e32 v4, v4, v5
	s_movk_i32 s12, 0x199a
	v_cmp_gt_u16_e32 vcc, s12, v4
	s_orn2_b64 s[12:13], vcc, exec
; %bb.9:
	s_or_b64 exec, exec, s[6:7]
	s_orn2_b64 s[6:7], s[12:13], exec
.LBB65_10:
	s_or_b64 exec, exec, s[10:11]
.LBB65_11:
	s_cbranch_execz .LBB65_23
	s_branch .LBB65_43
.LBB65_12:
                                        ; implicit-def: $sgpr6_sgpr7
                                        ; implicit-def: $vgpr3
	s_branch .LBB65_23
.LBB65_13:
                                        ; implicit-def: $sgpr6_sgpr7
                                        ; implicit-def: $vgpr3
	s_cbranch_execz .LBB65_11
; %bb.14:
	s_add_i32 s6, s4, -1
	s_mov_b32 s7, 0
	s_lshl_b64 s[6:7], s[6:7], 2
	s_add_u32 s6, s0, s6
	s_addc_u32 s7, s1, s7
	s_load_dword s6, s[6:7], 0x0
	v_cmp_ne_u32_e32 vcc, 0, v0
	s_waitcnt vmcnt(0)
	ds_write_b32 v2, v1
	s_waitcnt lgkmcnt(0)
	s_barrier
	v_mov_b32_e32 v3, s6
	s_and_saveexec_b64 s[6:7], vcc
	s_cbranch_execz .LBB65_16
; %bb.15:
	v_add_u32_e32 v3, -4, v2
	ds_read_b32 v3, v3
.LBB65_16:
	s_or_b64 exec, exec, s[6:7]
	s_waitcnt lgkmcnt(0)
	v_cmp_ne_u32_e32 vcc, v3, v1
	s_mov_b64 s[6:7], -1
	s_mov_b64 s[10:11], -1
	s_and_saveexec_b64 s[12:13], vcc
; %bb.17:
	v_mul_lo_u16_e32 v3, 0xcccd, v0
	v_lshlrev_b16_e32 v4, 15, v3
	v_lshrrev_b16_e32 v3, 1, v3
	v_or_b32_e32 v3, v3, v4
	s_movk_i32 s10, 0x199a
	v_cmp_gt_u16_e32 vcc, s10, v3
	s_orn2_b64 s[10:11], vcc, exec
; %bb.18:
	s_or_b64 exec, exec, s[12:13]
	s_movk_i32 s12, 0xff
	v_cmp_ne_u32_e32 vcc, s12, v0
	ds_write_b32 v2, v1 offset:1024
	s_waitcnt lgkmcnt(0)
	s_barrier
	s_and_saveexec_b64 s[12:13], vcc
	s_cbranch_execz .LBB65_22
; %bb.19:
	ds_read_b32 v3, v2 offset:1028
	s_mov_b64 s[14:15], -1
	s_waitcnt lgkmcnt(0)
	v_cmp_ne_u32_e32 vcc, v3, v1
	s_and_saveexec_b64 s[6:7], vcc
; %bb.20:
	s_movk_i32 s14, 0xcccd
	v_mad_legacy_u16 v3, v0, s14, s14
	v_lshlrev_b16_e32 v4, 15, v3
	v_lshrrev_b16_e32 v3, 1, v3
	v_or_b32_e32 v3, v3, v4
	s_movk_i32 s14, 0x199a
	v_cmp_gt_u16_e32 vcc, s14, v3
	s_orn2_b64 s[14:15], vcc, exec
; %bb.21:
	s_or_b64 exec, exec, s[6:7]
	s_orn2_b64 s[6:7], s[14:15], exec
.LBB65_22:
	s_or_b64 exec, exec, s[12:13]
	v_cndmask_b32_e64 v3, 0, 1, s[10:11]
	s_cbranch_execnz .LBB65_43
.LBB65_23:
	s_cmp_eq_u32 s16, 1
	v_cmp_ne_u32_e32 vcc, 0, v0
	s_cbranch_scc1 .LBB65_33
; %bb.24:
	s_add_i32 s6, s4, 0x100
	s_mov_b32 s7, 0
	s_lshl_b64 s[6:7], s[6:7], 2
	s_add_u32 s6, s0, s6
	s_addc_u32 s7, s1, s7
	s_load_dword s14, s[6:7], 0x0
	v_mov_b32_e32 v3, 1
	s_waitcnt vmcnt(0)
	ds_write_b32 v2, v1
	s_waitcnt lgkmcnt(0)
	s_barrier
	s_and_saveexec_b64 s[6:7], vcc
	s_cbranch_execz .LBB65_28
; %bb.25:
	v_add_u32_e32 v3, -4, v2
	ds_read_b32 v3, v3
	s_mov_b64 s[12:13], -1
	s_waitcnt lgkmcnt(0)
	v_cmp_ne_u32_e32 vcc, v3, v1
	s_and_saveexec_b64 s[10:11], vcc
; %bb.26:
	v_mul_lo_u16_e32 v3, 0xcccd, v0
	v_lshlrev_b16_e32 v4, 15, v3
	v_lshrrev_b16_e32 v3, 1, v3
	v_or_b32_e32 v3, v3, v4
	s_movk_i32 s12, 0x199a
	v_cmp_gt_u16_e32 vcc, s12, v3
	s_orn2_b64 s[12:13], vcc, exec
; %bb.27:
	s_or_b64 exec, exec, s[10:11]
	v_cndmask_b32_e64 v3, 0, 1, s[12:13]
.LBB65_28:
	s_or_b64 exec, exec, s[6:7]
	s_movk_i32 s6, 0xff
	v_cmp_ne_u32_e32 vcc, s6, v0
	v_mov_b32_e32 v4, s14
	ds_write_b32 v2, v1 offset:1024
	s_waitcnt lgkmcnt(0)
	s_barrier
	s_and_saveexec_b64 s[6:7], vcc
	s_cbranch_execz .LBB65_30
; %bb.29:
	ds_read_b32 v4, v2 offset:1028
.LBB65_30:
	s_or_b64 exec, exec, s[6:7]
	s_waitcnt lgkmcnt(0)
	v_cmp_ne_u32_e32 vcc, v4, v1
	s_mov_b64 s[6:7], -1
	s_and_saveexec_b64 s[10:11], vcc
; %bb.31:
	s_movk_i32 s6, 0xcccd
	v_mad_legacy_u16 v4, v0, s6, s6
	v_lshlrev_b16_e32 v5, 15, v4
	v_lshrrev_b16_e32 v4, 1, v4
	v_or_b32_e32 v4, v4, v5
	s_movk_i32 s6, 0x199a
	v_cmp_gt_u16_e32 vcc, s6, v4
	s_orn2_b64 s[6:7], vcc, exec
; %bb.32:
	s_or_b64 exec, exec, s[10:11]
	s_branch .LBB65_43
.LBB65_33:
                                        ; implicit-def: $sgpr6_sgpr7
                                        ; implicit-def: $vgpr3
	s_cbranch_execz .LBB65_43
; %bb.34:
	s_add_i32 s6, s4, -1
	s_mov_b32 s7, 0
	s_lshl_b64 s[10:11], s[6:7], 2
	s_add_u32 s12, s0, s10
	s_addc_u32 s13, s1, s11
	s_add_i32 s6, s4, 0x100
	s_lshl_b64 s[6:7], s[6:7], 2
	s_add_u32 s0, s0, s6
	s_addc_u32 s1, s1, s7
	s_load_dword s6, s[12:13], 0x0
	s_load_dword s10, s[0:1], 0x0
	v_cmp_ne_u32_e32 vcc, 0, v0
	s_waitcnt vmcnt(0)
	ds_write_b32 v2, v1
	s_waitcnt lgkmcnt(0)
	v_mov_b32_e32 v3, s6
	s_barrier
	s_and_saveexec_b64 s[0:1], vcc
	s_cbranch_execz .LBB65_36
; %bb.35:
	v_add_u32_e32 v3, -4, v2
	ds_read_b32 v3, v3
.LBB65_36:
	s_or_b64 exec, exec, s[0:1]
	s_waitcnt lgkmcnt(0)
	v_cmp_ne_u32_e32 vcc, v3, v1
	s_mov_b64 s[0:1], -1
	s_and_saveexec_b64 s[6:7], vcc
; %bb.37:
	v_mul_lo_u16_e32 v3, 0xcccd, v0
	v_lshlrev_b16_e32 v4, 15, v3
	v_lshrrev_b16_e32 v3, 1, v3
	v_or_b32_e32 v3, v3, v4
	s_movk_i32 s0, 0x199a
	v_cmp_gt_u16_e32 vcc, s0, v3
	s_orn2_b64 s[0:1], vcc, exec
; %bb.38:
	s_or_b64 exec, exec, s[6:7]
	s_movk_i32 s6, 0xff
	v_cmp_ne_u32_e32 vcc, s6, v0
	v_mov_b32_e32 v3, s10
	ds_write_b32 v2, v1 offset:1024
	s_waitcnt lgkmcnt(0)
	s_barrier
	s_and_saveexec_b64 s[6:7], vcc
	s_cbranch_execz .LBB65_40
; %bb.39:
	ds_read_b32 v3, v2 offset:1028
.LBB65_40:
	s_or_b64 exec, exec, s[6:7]
	s_waitcnt lgkmcnt(0)
	v_cmp_ne_u32_e32 vcc, v3, v1
	s_mov_b64 s[6:7], -1
	s_and_saveexec_b64 s[10:11], vcc
; %bb.41:
	s_movk_i32 s6, 0xcccd
	v_mad_legacy_u16 v1, v0, s6, s6
	v_lshlrev_b16_e32 v2, 15, v1
	v_lshrrev_b16_e32 v1, 1, v1
	v_or_b32_e32 v1, v1, v2
	s_movk_i32 s6, 0x199a
	v_cmp_gt_u16_e32 vcc, s6, v1
	s_orn2_b64 s[6:7], vcc, exec
; %bb.42:
	s_or_b64 exec, exec, s[10:11]
	v_cndmask_b32_e64 v3, 0, 1, s[0:1]
.LBB65_43:
	s_lshl_b64 s[0:1], s[4:5], 3
	s_add_u32 s2, s2, s0
	s_addc_u32 s3, s3, s1
	v_lshlrev_b32_e32 v2, 3, v0
	v_and_b32_e32 v0, 0xff, v3
	s_waitcnt vmcnt(0)
	v_mov_b32_e32 v1, 0
	global_store_dwordx2 v2, v[0:1], s[2:3]
	s_add_u32 s0, s8, s0
	s_mov_b32 s2, 0
	s_addc_u32 s1, s9, s1
	v_cndmask_b32_e64 v0, 0, 1, s[6:7]
	v_mov_b32_e32 v1, s2
	global_store_dwordx2 v2, v[0:1], s[0:1]
	s_endpgm
	.section	.rodata,"a",@progbits
	.p2align	6, 0x0
	.amdhsa_kernel _Z27flag_heads_and_tails_kernelIib15custom_flag_op1IiELj256ELj1EEvPT_PxS4_
		.amdhsa_group_segment_fixed_size 2048
		.amdhsa_private_segment_fixed_size 0
		.amdhsa_kernarg_size 24
		.amdhsa_user_sgpr_count 6
		.amdhsa_user_sgpr_private_segment_buffer 1
		.amdhsa_user_sgpr_dispatch_ptr 0
		.amdhsa_user_sgpr_queue_ptr 0
		.amdhsa_user_sgpr_kernarg_segment_ptr 1
		.amdhsa_user_sgpr_dispatch_id 0
		.amdhsa_user_sgpr_flat_scratch_init 0
		.amdhsa_user_sgpr_kernarg_preload_length 0
		.amdhsa_user_sgpr_kernarg_preload_offset 0
		.amdhsa_user_sgpr_private_segment_size 0
		.amdhsa_uses_dynamic_stack 0
		.amdhsa_system_sgpr_private_segment_wavefront_offset 0
		.amdhsa_system_sgpr_workgroup_id_x 1
		.amdhsa_system_sgpr_workgroup_id_y 0
		.amdhsa_system_sgpr_workgroup_id_z 0
		.amdhsa_system_sgpr_workgroup_info 0
		.amdhsa_system_vgpr_workitem_id 0
		.amdhsa_next_free_vgpr 6
		.amdhsa_next_free_sgpr 17
		.amdhsa_accum_offset 8
		.amdhsa_reserve_vcc 1
		.amdhsa_reserve_flat_scratch 0
		.amdhsa_float_round_mode_32 0
		.amdhsa_float_round_mode_16_64 0
		.amdhsa_float_denorm_mode_32 3
		.amdhsa_float_denorm_mode_16_64 3
		.amdhsa_dx10_clamp 1
		.amdhsa_ieee_mode 1
		.amdhsa_fp16_overflow 0
		.amdhsa_tg_split 0
		.amdhsa_exception_fp_ieee_invalid_op 0
		.amdhsa_exception_fp_denorm_src 0
		.amdhsa_exception_fp_ieee_div_zero 0
		.amdhsa_exception_fp_ieee_overflow 0
		.amdhsa_exception_fp_ieee_underflow 0
		.amdhsa_exception_fp_ieee_inexact 0
		.amdhsa_exception_int_div_zero 0
	.end_amdhsa_kernel
	.section	.text._Z27flag_heads_and_tails_kernelIib15custom_flag_op1IiELj256ELj1EEvPT_PxS4_,"axG",@progbits,_Z27flag_heads_and_tails_kernelIib15custom_flag_op1IiELj256ELj1EEvPT_PxS4_,comdat
.Lfunc_end65:
	.size	_Z27flag_heads_and_tails_kernelIib15custom_flag_op1IiELj256ELj1EEvPT_PxS4_, .Lfunc_end65-_Z27flag_heads_and_tails_kernelIib15custom_flag_op1IiELj256ELj1EEvPT_PxS4_
                                        ; -- End function
	.section	.AMDGPU.csdata,"",@progbits
; Kernel info:
; codeLenInByte = 1172
; NumSgprs: 21
; NumVgprs: 6
; NumAgprs: 0
; TotalNumVgprs: 6
; ScratchSize: 0
; MemoryBound: 0
; FloatMode: 240
; IeeeMode: 1
; LDSByteSize: 2048 bytes/workgroup (compile time only)
; SGPRBlocks: 2
; VGPRBlocks: 0
; NumSGPRsForWavesPerEU: 21
; NumVGPRsForWavesPerEU: 6
; AccumOffset: 8
; Occupancy: 8
; WaveLimiterHint : 0
; COMPUTE_PGM_RSRC2:SCRATCH_EN: 0
; COMPUTE_PGM_RSRC2:USER_SGPR: 6
; COMPUTE_PGM_RSRC2:TRAP_HANDLER: 0
; COMPUTE_PGM_RSRC2:TGID_X_EN: 1
; COMPUTE_PGM_RSRC2:TGID_Y_EN: 0
; COMPUTE_PGM_RSRC2:TGID_Z_EN: 0
; COMPUTE_PGM_RSRC2:TIDIG_COMP_CNT: 0
; COMPUTE_PGM_RSRC3_GFX90A:ACCUM_OFFSET: 1
; COMPUTE_PGM_RSRC3_GFX90A:TG_SPLIT: 0
	.section	.text._Z27flag_heads_and_tails_kernelIccN10test_utils10less_equalELj1024ELj1EEvPT_PxS4_,"axG",@progbits,_Z27flag_heads_and_tails_kernelIccN10test_utils10less_equalELj1024ELj1EEvPT_PxS4_,comdat
	.protected	_Z27flag_heads_and_tails_kernelIccN10test_utils10less_equalELj1024ELj1EEvPT_PxS4_ ; -- Begin function _Z27flag_heads_and_tails_kernelIccN10test_utils10less_equalELj1024ELj1EEvPT_PxS4_
	.globl	_Z27flag_heads_and_tails_kernelIccN10test_utils10less_equalELj1024ELj1EEvPT_PxS4_
	.p2align	8
	.type	_Z27flag_heads_and_tails_kernelIccN10test_utils10less_equalELj1024ELj1EEvPT_PxS4_,@function
_Z27flag_heads_and_tails_kernelIccN10test_utils10less_equalELj1024ELj1EEvPT_PxS4_: ; @_Z27flag_heads_and_tails_kernelIccN10test_utils10less_equalELj1024ELj1EEvPT_PxS4_
; %bb.0:
	s_load_dwordx4 s[0:3], s[4:5], 0x0
	s_load_dwordx2 s[8:9], s[4:5], 0x10
	s_lshl_b32 s4, s6, 10
	s_mov_b32 s5, 0
	s_waitcnt lgkmcnt(0)
	s_add_u32 s10, s0, s4
	s_addc_u32 s11, s1, 0
	global_load_sbyte v1, v0, s[10:11]
	s_and_b32 s14, s6, 3
	s_cmp_lt_i32 s14, 2
	s_cbranch_scc1 .LBB66_8
; %bb.1:
	s_cmp_gt_i32 s14, 2
	s_cbranch_scc0 .LBB66_9
; %bb.2:
	v_cmp_ne_u32_e32 vcc, 0, v0
	v_mov_b32_e32 v2, 1
	s_waitcnt vmcnt(0)
	ds_write_b8 v0, v1
	s_waitcnt lgkmcnt(0)
	s_barrier
	s_and_saveexec_b64 s[6:7], vcc
	s_cbranch_execz .LBB66_4
; %bb.3:
	v_add_u32_e32 v2, -1, v0
	ds_read_i8 v2, v2
	s_waitcnt lgkmcnt(0)
	v_cmp_ge_i16_e32 vcc, v2, v1
	v_cndmask_b32_e64 v2, 0, 1, vcc
.LBB66_4:
	s_or_b64 exec, exec, s[6:7]
	s_movk_i32 s6, 0x3ff
	v_cmp_ne_u32_e32 vcc, s6, v0
	s_mov_b64 s[6:7], -1
	ds_write_b8 v0, v1 offset:1024
	s_waitcnt lgkmcnt(0)
	s_barrier
	s_and_saveexec_b64 s[10:11], vcc
	s_cbranch_execz .LBB66_6
; %bb.5:
	ds_read_i8 v3, v0 offset:1025
	s_waitcnt lgkmcnt(0)
	v_cmp_le_i16_e32 vcc, v3, v1
	s_orn2_b64 s[6:7], vcc, exec
.LBB66_6:
	s_or_b64 exec, exec, s[10:11]
.LBB66_7:
	s_cbranch_execz .LBB66_15
	s_branch .LBB66_27
.LBB66_8:
                                        ; implicit-def: $sgpr6_sgpr7
                                        ; implicit-def: $vgpr2
	s_branch .LBB66_15
.LBB66_9:
                                        ; implicit-def: $sgpr6_sgpr7
                                        ; implicit-def: $vgpr2
	s_cbranch_execz .LBB66_7
; %bb.10:
	s_add_i32 s6, s4, -1
	v_mov_b32_e32 v2, s6
	global_load_ubyte v2, v2, s[0:1]
	v_cmp_ne_u32_e32 vcc, 0, v0
	s_waitcnt vmcnt(1)
	ds_write_b8 v0, v1
	s_waitcnt lgkmcnt(0)
	s_barrier
	s_and_saveexec_b64 s[6:7], vcc
	s_cbranch_execz .LBB66_12
; %bb.11:
	s_waitcnt vmcnt(0)
	v_add_u32_e32 v2, -1, v0
	ds_read_u8 v2, v2
.LBB66_12:
	s_or_b64 exec, exec, s[6:7]
	s_movk_i32 s6, 0x3ff
	s_waitcnt vmcnt(0) lgkmcnt(0)
	v_cmp_ge_i16_sdwa s[10:11], sext(v2), v1 src0_sel:BYTE_0 src1_sel:DWORD
	v_cmp_ne_u32_e32 vcc, s6, v0
	s_mov_b64 s[6:7], -1
	ds_write_b8 v0, v1 offset:1024
	s_waitcnt lgkmcnt(0)
	s_barrier
	s_and_saveexec_b64 s[12:13], vcc
	s_cbranch_execz .LBB66_14
; %bb.13:
	ds_read_i8 v2, v0 offset:1025
	s_waitcnt lgkmcnt(0)
	v_cmp_le_i16_e32 vcc, v2, v1
	s_orn2_b64 s[6:7], vcc, exec
.LBB66_14:
	s_or_b64 exec, exec, s[12:13]
	v_cndmask_b32_e64 v2, 0, 1, s[10:11]
	s_cbranch_execnz .LBB66_27
.LBB66_15:
	s_cmp_eq_u32 s14, 1
	v_cmp_ne_u32_e32 vcc, 0, v0
	s_cbranch_scc1 .LBB66_21
; %bb.16:
	s_add_i32 s6, s4, 0x400
	v_mov_b32_e32 v2, s6
	global_load_ubyte v3, v2, s[0:1]
	v_mov_b32_e32 v2, 1
	s_waitcnt vmcnt(1)
	ds_write_b8 v0, v1
	s_waitcnt lgkmcnt(0)
	s_barrier
	s_and_saveexec_b64 s[6:7], vcc
	s_cbranch_execz .LBB66_18
; %bb.17:
	v_add_u32_e32 v2, -1, v0
	ds_read_i8 v2, v2
	s_waitcnt lgkmcnt(0)
	v_cmp_ge_i16_e32 vcc, v2, v1
	v_cndmask_b32_e64 v2, 0, 1, vcc
.LBB66_18:
	s_or_b64 exec, exec, s[6:7]
	s_movk_i32 s6, 0x3ff
	v_cmp_ne_u32_e32 vcc, s6, v0
	ds_write_b8 v0, v1 offset:1024
	s_waitcnt lgkmcnt(0)
	s_barrier
	s_and_saveexec_b64 s[6:7], vcc
	s_cbranch_execz .LBB66_20
; %bb.19:
	s_waitcnt vmcnt(0)
	ds_read_u8 v3, v0 offset:1025
.LBB66_20:
	s_or_b64 exec, exec, s[6:7]
	s_waitcnt vmcnt(0) lgkmcnt(0)
	v_cmp_le_i16_sdwa s[6:7], sext(v3), v1 src0_sel:BYTE_0 src1_sel:DWORD
	s_branch .LBB66_27
.LBB66_21:
                                        ; implicit-def: $sgpr6_sgpr7
                                        ; implicit-def: $vgpr2
	s_cbranch_execz .LBB66_27
; %bb.22:
	s_add_i32 s6, s4, -1
	v_mov_b32_e32 v4, s6
	s_add_i32 s6, s4, 0x400
	v_mov_b32_e32 v5, s6
	global_load_ubyte v2, v4, s[0:1]
	global_load_ubyte v3, v5, s[0:1]
	v_cmp_ne_u32_e32 vcc, 0, v0
	s_waitcnt vmcnt(2)
	ds_write_b8 v0, v1
	s_waitcnt lgkmcnt(0)
	s_barrier
	s_and_saveexec_b64 s[0:1], vcc
	s_cbranch_execz .LBB66_24
; %bb.23:
	s_waitcnt vmcnt(1)
	v_add_u32_e32 v2, -1, v0
	ds_read_u8 v2, v2
.LBB66_24:
	s_or_b64 exec, exec, s[0:1]
	s_movk_i32 s0, 0x3ff
	v_cmp_ne_u32_e32 vcc, s0, v0
	ds_write_b8 v0, v1 offset:1024
	s_waitcnt lgkmcnt(0)
	s_barrier
	s_and_saveexec_b64 s[0:1], vcc
	s_cbranch_execz .LBB66_26
; %bb.25:
	s_waitcnt vmcnt(0)
	ds_read_u8 v3, v0 offset:1025
.LBB66_26:
	s_or_b64 exec, exec, s[0:1]
	s_waitcnt vmcnt(1)
	v_cmp_ge_i16_sdwa s[0:1], sext(v2), v1 src0_sel:BYTE_0 src1_sel:DWORD
	v_cndmask_b32_e64 v2, 0, 1, s[0:1]
	s_waitcnt vmcnt(0) lgkmcnt(0)
	v_cmp_le_i16_sdwa s[6:7], sext(v3), v1 src0_sel:BYTE_0 src1_sel:DWORD
.LBB66_27:
	s_lshl_b64 s[0:1], s[4:5], 3
	s_add_u32 s2, s2, s0
	s_addc_u32 s3, s3, s1
	v_lshlrev_b32_e32 v3, 3, v0
	v_and_b32_e32 v0, 0xff, v2
	s_waitcnt vmcnt(0)
	v_mov_b32_e32 v1, 0
	global_store_dwordx2 v3, v[0:1], s[2:3]
	s_add_u32 s0, s8, s0
	s_mov_b32 s2, 0
	s_addc_u32 s1, s9, s1
	v_cndmask_b32_e64 v0, 0, 1, s[6:7]
	v_mov_b32_e32 v1, s2
	global_store_dwordx2 v3, v[0:1], s[0:1]
	s_endpgm
	.section	.rodata,"a",@progbits
	.p2align	6, 0x0
	.amdhsa_kernel _Z27flag_heads_and_tails_kernelIccN10test_utils10less_equalELj1024ELj1EEvPT_PxS4_
		.amdhsa_group_segment_fixed_size 2048
		.amdhsa_private_segment_fixed_size 0
		.amdhsa_kernarg_size 24
		.amdhsa_user_sgpr_count 6
		.amdhsa_user_sgpr_private_segment_buffer 1
		.amdhsa_user_sgpr_dispatch_ptr 0
		.amdhsa_user_sgpr_queue_ptr 0
		.amdhsa_user_sgpr_kernarg_segment_ptr 1
		.amdhsa_user_sgpr_dispatch_id 0
		.amdhsa_user_sgpr_flat_scratch_init 0
		.amdhsa_user_sgpr_kernarg_preload_length 0
		.amdhsa_user_sgpr_kernarg_preload_offset 0
		.amdhsa_user_sgpr_private_segment_size 0
		.amdhsa_uses_dynamic_stack 0
		.amdhsa_system_sgpr_private_segment_wavefront_offset 0
		.amdhsa_system_sgpr_workgroup_id_x 1
		.amdhsa_system_sgpr_workgroup_id_y 0
		.amdhsa_system_sgpr_workgroup_id_z 0
		.amdhsa_system_sgpr_workgroup_info 0
		.amdhsa_system_vgpr_workitem_id 0
		.amdhsa_next_free_vgpr 6
		.amdhsa_next_free_sgpr 15
		.amdhsa_accum_offset 8
		.amdhsa_reserve_vcc 1
		.amdhsa_reserve_flat_scratch 0
		.amdhsa_float_round_mode_32 0
		.amdhsa_float_round_mode_16_64 0
		.amdhsa_float_denorm_mode_32 3
		.amdhsa_float_denorm_mode_16_64 3
		.amdhsa_dx10_clamp 1
		.amdhsa_ieee_mode 1
		.amdhsa_fp16_overflow 0
		.amdhsa_tg_split 0
		.amdhsa_exception_fp_ieee_invalid_op 0
		.amdhsa_exception_fp_denorm_src 0
		.amdhsa_exception_fp_ieee_div_zero 0
		.amdhsa_exception_fp_ieee_overflow 0
		.amdhsa_exception_fp_ieee_underflow 0
		.amdhsa_exception_fp_ieee_inexact 0
		.amdhsa_exception_int_div_zero 0
	.end_amdhsa_kernel
	.section	.text._Z27flag_heads_and_tails_kernelIccN10test_utils10less_equalELj1024ELj1EEvPT_PxS4_,"axG",@progbits,_Z27flag_heads_and_tails_kernelIccN10test_utils10less_equalELj1024ELj1EEvPT_PxS4_,comdat
.Lfunc_end66:
	.size	_Z27flag_heads_and_tails_kernelIccN10test_utils10less_equalELj1024ELj1EEvPT_PxS4_, .Lfunc_end66-_Z27flag_heads_and_tails_kernelIccN10test_utils10less_equalELj1024ELj1EEvPT_PxS4_
                                        ; -- End function
	.section	.AMDGPU.csdata,"",@progbits
; Kernel info:
; codeLenInByte = 768
; NumSgprs: 19
; NumVgprs: 6
; NumAgprs: 0
; TotalNumVgprs: 6
; ScratchSize: 0
; MemoryBound: 0
; FloatMode: 240
; IeeeMode: 1
; LDSByteSize: 2048 bytes/workgroup (compile time only)
; SGPRBlocks: 2
; VGPRBlocks: 0
; NumSGPRsForWavesPerEU: 19
; NumVGPRsForWavesPerEU: 6
; AccumOffset: 8
; Occupancy: 8
; WaveLimiterHint : 0
; COMPUTE_PGM_RSRC2:SCRATCH_EN: 0
; COMPUTE_PGM_RSRC2:USER_SGPR: 6
; COMPUTE_PGM_RSRC2:TRAP_HANDLER: 0
; COMPUTE_PGM_RSRC2:TGID_X_EN: 1
; COMPUTE_PGM_RSRC2:TGID_Y_EN: 0
; COMPUTE_PGM_RSRC2:TGID_Z_EN: 0
; COMPUTE_PGM_RSRC2:TIDIG_COMP_CNT: 0
; COMPUTE_PGM_RSRC3_GFX90A:ACCUM_OFFSET: 1
; COMPUTE_PGM_RSRC3_GFX90A:TG_SPLIT: 0
	.section	.text._Z27flag_heads_and_tails_kernelI12hip_bfloat16iN10test_utils4lessELj256ELj1EEvPT_PxS5_,"axG",@progbits,_Z27flag_heads_and_tails_kernelI12hip_bfloat16iN10test_utils4lessELj256ELj1EEvPT_PxS5_,comdat
	.protected	_Z27flag_heads_and_tails_kernelI12hip_bfloat16iN10test_utils4lessELj256ELj1EEvPT_PxS5_ ; -- Begin function _Z27flag_heads_and_tails_kernelI12hip_bfloat16iN10test_utils4lessELj256ELj1EEvPT_PxS5_
	.globl	_Z27flag_heads_and_tails_kernelI12hip_bfloat16iN10test_utils4lessELj256ELj1EEvPT_PxS5_
	.p2align	8
	.type	_Z27flag_heads_and_tails_kernelI12hip_bfloat16iN10test_utils4lessELj256ELj1EEvPT_PxS5_,@function
_Z27flag_heads_and_tails_kernelI12hip_bfloat16iN10test_utils4lessELj256ELj1EEvPT_PxS5_: ; @_Z27flag_heads_and_tails_kernelI12hip_bfloat16iN10test_utils4lessELj256ELj1EEvPT_PxS5_
; %bb.0:
	s_load_dwordx4 s[8:11], s[4:5], 0x0
	s_load_dwordx2 s[2:3], s[4:5], 0x10
	s_lshl_b32 s4, s6, 8
	s_mov_b32 s5, 0
	s_lshl_b64 s[0:1], s[4:5], 1
	s_waitcnt lgkmcnt(0)
	s_add_u32 s0, s8, s0
	s_addc_u32 s1, s9, s1
	v_lshlrev_b32_e32 v3, 1, v0
	global_load_ushort v1, v3, s[0:1]
	s_and_b32 s14, s6, 3
	s_cmp_lt_i32 s14, 2
	s_cbranch_scc1 .LBB67_8
; %bb.1:
	s_cmp_gt_i32 s14, 2
	s_cbranch_scc0 .LBB67_9
; %bb.2:
	v_cmp_ne_u32_e32 vcc, 0, v0
	v_mov_b32_e32 v2, 1
	s_waitcnt vmcnt(0)
	ds_write_b16 v3, v1
	s_waitcnt lgkmcnt(0)
	s_barrier
	s_and_saveexec_b64 s[0:1], vcc
	s_cbranch_execz .LBB67_4
; %bb.3:
	v_add_u32_e32 v2, -2, v3
	ds_read_u16 v2, v2
	v_lshlrev_b32_e32 v4, 16, v1
	s_waitcnt lgkmcnt(0)
	v_lshlrev_b32_e32 v2, 16, v2
	v_cmp_lt_f32_e32 vcc, v4, v2
	v_cndmask_b32_e64 v2, 0, 1, vcc
.LBB67_4:
	s_or_b64 exec, exec, s[0:1]
	s_movk_i32 s0, 0xff
	v_cmp_ne_u32_e32 vcc, s0, v0
	s_mov_b64 s[6:7], -1
	ds_write_b16 v3, v1 offset:512
	s_waitcnt lgkmcnt(0)
	s_barrier
	s_and_saveexec_b64 s[0:1], vcc
	s_cbranch_execz .LBB67_6
; %bb.5:
	ds_read_u16 v4, v3 offset:514
	v_lshlrev_b32_e32 v5, 16, v1
	s_waitcnt lgkmcnt(0)
	v_lshlrev_b32_e32 v4, 16, v4
	v_cmp_lt_f32_e32 vcc, v4, v5
	s_orn2_b64 s[6:7], vcc, exec
.LBB67_6:
	s_or_b64 exec, exec, s[0:1]
.LBB67_7:
	s_cbranch_execz .LBB67_15
	s_branch .LBB67_27
.LBB67_8:
                                        ; implicit-def: $sgpr6_sgpr7
                                        ; implicit-def: $vgpr2
	s_branch .LBB67_15
.LBB67_9:
                                        ; implicit-def: $sgpr6_sgpr7
                                        ; implicit-def: $vgpr2
	s_cbranch_execz .LBB67_7
; %bb.10:
	s_add_i32 s0, s4, -1
	s_mov_b32 s1, 0
	s_lshl_b64 s[0:1], s[0:1], 1
	s_add_u32 s0, s8, s0
	s_addc_u32 s1, s9, s1
	v_mov_b32_e32 v2, 0
	global_load_ushort v4, v2, s[0:1]
	v_cmp_ne_u32_e32 vcc, 0, v0
	s_waitcnt vmcnt(1)
	ds_write_b16 v3, v1
	s_waitcnt lgkmcnt(0)
	s_barrier
	s_and_saveexec_b64 s[0:1], vcc
	s_cbranch_execz .LBB67_12
; %bb.11:
	v_add_u32_e32 v2, -2, v3
	s_waitcnt vmcnt(0)
	ds_read_u16 v4, v2
.LBB67_12:
	s_or_b64 exec, exec, s[0:1]
	v_lshlrev_b32_e32 v2, 16, v1
	s_waitcnt vmcnt(0) lgkmcnt(0)
	v_lshlrev_b32_e32 v4, 16, v4
	s_movk_i32 s0, 0xff
	v_cmp_lt_f32_e32 vcc, v2, v4
	v_cmp_ne_u32_e64 s[0:1], s0, v0
	s_mov_b64 s[6:7], -1
	ds_write_b16 v3, v1 offset:512
	s_waitcnt lgkmcnt(0)
	s_barrier
	s_and_saveexec_b64 s[12:13], s[0:1]
	s_cbranch_execz .LBB67_14
; %bb.13:
	ds_read_u16 v4, v3 offset:514
	s_waitcnt lgkmcnt(0)
	v_lshlrev_b32_e32 v4, 16, v4
	v_cmp_gt_f32_e64 s[0:1], v2, v4
	s_orn2_b64 s[6:7], s[0:1], exec
.LBB67_14:
	s_or_b64 exec, exec, s[12:13]
	v_cndmask_b32_e64 v2, 0, 1, vcc
	s_cbranch_execnz .LBB67_27
.LBB67_15:
	s_cmp_eq_u32 s14, 1
	v_cmp_ne_u32_e32 vcc, 0, v0
	s_cbranch_scc1 .LBB67_21
; %bb.16:
	s_add_i32 s0, s4, 0x100
	s_mov_b32 s1, 0
	s_lshl_b64 s[0:1], s[0:1], 1
	s_add_u32 s0, s8, s0
	s_addc_u32 s1, s9, s1
	v_mov_b32_e32 v2, 0
	global_load_ushort v4, v2, s[0:1]
	v_mov_b32_e32 v2, 1
	s_waitcnt vmcnt(1)
	ds_write_b16 v3, v1
	s_waitcnt lgkmcnt(0)
	s_barrier
	s_and_saveexec_b64 s[0:1], vcc
	s_cbranch_execz .LBB67_18
; %bb.17:
	v_add_u32_e32 v2, -2, v3
	ds_read_u16 v2, v2
	v_lshlrev_b32_e32 v5, 16, v1
	s_waitcnt lgkmcnt(0)
	v_lshlrev_b32_e32 v2, 16, v2
	v_cmp_lt_f32_e32 vcc, v5, v2
	v_cndmask_b32_e64 v2, 0, 1, vcc
.LBB67_18:
	s_or_b64 exec, exec, s[0:1]
	s_movk_i32 s0, 0xff
	v_cmp_ne_u32_e32 vcc, s0, v0
	ds_write_b16 v3, v1 offset:512
	s_waitcnt lgkmcnt(0)
	s_barrier
	s_and_saveexec_b64 s[0:1], vcc
	s_cbranch_execz .LBB67_20
; %bb.19:
	s_waitcnt vmcnt(0)
	ds_read_u16 v4, v3 offset:514
.LBB67_20:
	s_or_b64 exec, exec, s[0:1]
	v_lshlrev_b32_e32 v5, 16, v1
	s_waitcnt vmcnt(0) lgkmcnt(0)
	v_lshlrev_b32_e32 v4, 16, v4
	v_cmp_lt_f32_e64 s[6:7], v4, v5
	s_branch .LBB67_27
.LBB67_21:
                                        ; implicit-def: $sgpr6_sgpr7
                                        ; implicit-def: $vgpr2
	s_cbranch_execz .LBB67_27
; %bb.22:
	s_add_i32 s0, s4, -1
	s_mov_b32 s1, 0
	s_lshl_b64 s[6:7], s[0:1], 1
	s_add_u32 s6, s8, s6
	s_addc_u32 s7, s9, s7
	s_add_i32 s0, s4, 0x100
	s_lshl_b64 s[0:1], s[0:1], 1
	v_mov_b32_e32 v5, 0
	s_add_u32 s0, s8, s0
	s_addc_u32 s1, s9, s1
	global_load_ushort v2, v5, s[6:7]
	global_load_ushort v4, v5, s[0:1]
	v_cmp_ne_u32_e32 vcc, 0, v0
	s_waitcnt vmcnt(2)
	ds_write_b16 v3, v1
	s_waitcnt lgkmcnt(0)
	s_barrier
	s_and_saveexec_b64 s[0:1], vcc
	s_cbranch_execz .LBB67_24
; %bb.23:
	s_waitcnt vmcnt(1)
	v_add_u32_e32 v2, -2, v3
	ds_read_u16 v2, v2
.LBB67_24:
	s_or_b64 exec, exec, s[0:1]
	s_movk_i32 s0, 0xff
	v_cmp_ne_u32_e32 vcc, s0, v0
	ds_write_b16 v3, v1 offset:512
	s_waitcnt lgkmcnt(0)
	s_barrier
	s_and_saveexec_b64 s[0:1], vcc
	s_cbranch_execz .LBB67_26
; %bb.25:
	s_waitcnt vmcnt(0)
	ds_read_u16 v4, v3 offset:514
.LBB67_26:
	s_or_b64 exec, exec, s[0:1]
	s_waitcnt vmcnt(1)
	v_lshlrev_b32_e32 v2, 16, v2
	v_lshlrev_b32_e32 v1, 16, v1
	v_cmp_lt_f32_e32 vcc, v1, v2
	s_waitcnt vmcnt(0) lgkmcnt(0)
	v_lshlrev_b32_e32 v3, 16, v4
	v_cndmask_b32_e64 v2, 0, 1, vcc
	v_cmp_gt_f32_e64 s[6:7], v1, v3
.LBB67_27:
	s_lshl_b64 s[0:1], s[4:5], 3
	s_add_u32 s4, s10, s0
	s_addc_u32 s5, s11, s1
	s_mov_b32 s8, 0
	s_add_u32 s0, s2, s0
	v_lshlrev_b32_e32 v4, 3, v0
	v_mov_b32_e32 v3, 0
	s_addc_u32 s1, s3, s1
	v_cndmask_b32_e64 v0, 0, 1, s[6:7]
	s_waitcnt vmcnt(0)
	v_mov_b32_e32 v1, s8
	global_store_dwordx2 v4, v[2:3], s[4:5]
	global_store_dwordx2 v4, v[0:1], s[0:1]
	s_endpgm
	.section	.rodata,"a",@progbits
	.p2align	6, 0x0
	.amdhsa_kernel _Z27flag_heads_and_tails_kernelI12hip_bfloat16iN10test_utils4lessELj256ELj1EEvPT_PxS5_
		.amdhsa_group_segment_fixed_size 1024
		.amdhsa_private_segment_fixed_size 0
		.amdhsa_kernarg_size 24
		.amdhsa_user_sgpr_count 6
		.amdhsa_user_sgpr_private_segment_buffer 1
		.amdhsa_user_sgpr_dispatch_ptr 0
		.amdhsa_user_sgpr_queue_ptr 0
		.amdhsa_user_sgpr_kernarg_segment_ptr 1
		.amdhsa_user_sgpr_dispatch_id 0
		.amdhsa_user_sgpr_flat_scratch_init 0
		.amdhsa_user_sgpr_kernarg_preload_length 0
		.amdhsa_user_sgpr_kernarg_preload_offset 0
		.amdhsa_user_sgpr_private_segment_size 0
		.amdhsa_uses_dynamic_stack 0
		.amdhsa_system_sgpr_private_segment_wavefront_offset 0
		.amdhsa_system_sgpr_workgroup_id_x 1
		.amdhsa_system_sgpr_workgroup_id_y 0
		.amdhsa_system_sgpr_workgroup_id_z 0
		.amdhsa_system_sgpr_workgroup_info 0
		.amdhsa_system_vgpr_workitem_id 0
		.amdhsa_next_free_vgpr 6
		.amdhsa_next_free_sgpr 15
		.amdhsa_accum_offset 8
		.amdhsa_reserve_vcc 1
		.amdhsa_reserve_flat_scratch 0
		.amdhsa_float_round_mode_32 0
		.amdhsa_float_round_mode_16_64 0
		.amdhsa_float_denorm_mode_32 3
		.amdhsa_float_denorm_mode_16_64 3
		.amdhsa_dx10_clamp 1
		.amdhsa_ieee_mode 1
		.amdhsa_fp16_overflow 0
		.amdhsa_tg_split 0
		.amdhsa_exception_fp_ieee_invalid_op 0
		.amdhsa_exception_fp_denorm_src 0
		.amdhsa_exception_fp_ieee_div_zero 0
		.amdhsa_exception_fp_ieee_overflow 0
		.amdhsa_exception_fp_ieee_underflow 0
		.amdhsa_exception_fp_ieee_inexact 0
		.amdhsa_exception_int_div_zero 0
	.end_amdhsa_kernel
	.section	.text._Z27flag_heads_and_tails_kernelI12hip_bfloat16iN10test_utils4lessELj256ELj1EEvPT_PxS5_,"axG",@progbits,_Z27flag_heads_and_tails_kernelI12hip_bfloat16iN10test_utils4lessELj256ELj1EEvPT_PxS5_,comdat
.Lfunc_end67:
	.size	_Z27flag_heads_and_tails_kernelI12hip_bfloat16iN10test_utils4lessELj256ELj1EEvPT_PxS5_, .Lfunc_end67-_Z27flag_heads_and_tails_kernelI12hip_bfloat16iN10test_utils4lessELj256ELj1EEvPT_PxS5_
                                        ; -- End function
	.section	.AMDGPU.csdata,"",@progbits
; Kernel info:
; codeLenInByte = 880
; NumSgprs: 19
; NumVgprs: 6
; NumAgprs: 0
; TotalNumVgprs: 6
; ScratchSize: 0
; MemoryBound: 0
; FloatMode: 240
; IeeeMode: 1
; LDSByteSize: 1024 bytes/workgroup (compile time only)
; SGPRBlocks: 2
; VGPRBlocks: 0
; NumSGPRsForWavesPerEU: 19
; NumVGPRsForWavesPerEU: 6
; AccumOffset: 8
; Occupancy: 8
; WaveLimiterHint : 0
; COMPUTE_PGM_RSRC2:SCRATCH_EN: 0
; COMPUTE_PGM_RSRC2:USER_SGPR: 6
; COMPUTE_PGM_RSRC2:TRAP_HANDLER: 0
; COMPUTE_PGM_RSRC2:TGID_X_EN: 1
; COMPUTE_PGM_RSRC2:TGID_Y_EN: 0
; COMPUTE_PGM_RSRC2:TGID_Z_EN: 0
; COMPUTE_PGM_RSRC2:TIDIG_COMP_CNT: 0
; COMPUTE_PGM_RSRC3_GFX90A:ACCUM_OFFSET: 1
; COMPUTE_PGM_RSRC3_GFX90A:TG_SPLIT: 0
	.section	.text._Z27flag_heads_and_tails_kernelI6__halfiN10test_utils4lessELj256ELj1EEvPT_PxS5_,"axG",@progbits,_Z27flag_heads_and_tails_kernelI6__halfiN10test_utils4lessELj256ELj1EEvPT_PxS5_,comdat
	.protected	_Z27flag_heads_and_tails_kernelI6__halfiN10test_utils4lessELj256ELj1EEvPT_PxS5_ ; -- Begin function _Z27flag_heads_and_tails_kernelI6__halfiN10test_utils4lessELj256ELj1EEvPT_PxS5_
	.globl	_Z27flag_heads_and_tails_kernelI6__halfiN10test_utils4lessELj256ELj1EEvPT_PxS5_
	.p2align	8
	.type	_Z27flag_heads_and_tails_kernelI6__halfiN10test_utils4lessELj256ELj1EEvPT_PxS5_,@function
_Z27flag_heads_and_tails_kernelI6__halfiN10test_utils4lessELj256ELj1EEvPT_PxS5_: ; @_Z27flag_heads_and_tails_kernelI6__halfiN10test_utils4lessELj256ELj1EEvPT_PxS5_
; %bb.0:
	s_load_dwordx4 s[8:11], s[4:5], 0x0
	s_load_dwordx2 s[2:3], s[4:5], 0x10
	s_lshl_b32 s4, s6, 8
	s_mov_b32 s5, 0
	s_lshl_b64 s[0:1], s[4:5], 1
	s_waitcnt lgkmcnt(0)
	s_add_u32 s0, s8, s0
	s_addc_u32 s1, s9, s1
	v_lshlrev_b32_e32 v3, 1, v0
	global_load_ushort v1, v3, s[0:1]
	s_and_b32 s14, s6, 3
	s_cmp_lt_i32 s14, 2
	s_cbranch_scc1 .LBB68_8
; %bb.1:
	s_cmp_gt_i32 s14, 2
	s_cbranch_scc0 .LBB68_9
; %bb.2:
	v_cmp_ne_u32_e32 vcc, 0, v0
	v_mov_b32_e32 v2, 1
	s_waitcnt vmcnt(0)
	ds_write_b16 v3, v1
	s_waitcnt lgkmcnt(0)
	s_barrier
	s_and_saveexec_b64 s[0:1], vcc
	s_cbranch_execz .LBB68_4
; %bb.3:
	v_add_u32_e32 v2, -2, v3
	ds_read_u16 v2, v2
	s_waitcnt lgkmcnt(0)
	v_cmp_gt_f16_e32 vcc, v2, v1
	v_cndmask_b32_e64 v2, 0, 1, vcc
.LBB68_4:
	s_or_b64 exec, exec, s[0:1]
	s_movk_i32 s0, 0xff
	v_cmp_ne_u32_e32 vcc, s0, v0
	s_mov_b64 s[6:7], -1
	ds_write_b16 v3, v1 offset:512
	s_waitcnt lgkmcnt(0)
	s_barrier
	s_and_saveexec_b64 s[0:1], vcc
	s_cbranch_execz .LBB68_6
; %bb.5:
	ds_read_u16 v4, v3 offset:514
	s_waitcnt lgkmcnt(0)
	v_cmp_lt_f16_e32 vcc, v4, v1
	s_orn2_b64 s[6:7], vcc, exec
.LBB68_6:
	s_or_b64 exec, exec, s[0:1]
.LBB68_7:
	s_cbranch_execz .LBB68_15
	s_branch .LBB68_27
.LBB68_8:
                                        ; implicit-def: $sgpr6_sgpr7
                                        ; implicit-def: $vgpr2
	s_branch .LBB68_15
.LBB68_9:
                                        ; implicit-def: $sgpr6_sgpr7
                                        ; implicit-def: $vgpr2
	s_cbranch_execz .LBB68_7
; %bb.10:
	s_add_i32 s0, s4, -1
	s_mov_b32 s1, 0
	s_lshl_b64 s[0:1], s[0:1], 1
	s_add_u32 s0, s8, s0
	s_addc_u32 s1, s9, s1
	v_mov_b32_e32 v2, 0
	global_load_ushort v2, v2, s[0:1]
	v_cmp_ne_u32_e32 vcc, 0, v0
	s_waitcnt vmcnt(1)
	ds_write_b16 v3, v1
	s_waitcnt lgkmcnt(0)
	s_barrier
	s_and_saveexec_b64 s[0:1], vcc
	s_cbranch_execz .LBB68_12
; %bb.11:
	s_waitcnt vmcnt(0)
	v_add_u32_e32 v2, -2, v3
	ds_read_u16 v2, v2
.LBB68_12:
	s_or_b64 exec, exec, s[0:1]
	s_movk_i32 s0, 0xff
	s_waitcnt vmcnt(0) lgkmcnt(0)
	v_cmp_gt_f16_e32 vcc, v2, v1
	v_cmp_ne_u32_e64 s[0:1], s0, v0
	s_mov_b64 s[6:7], -1
	ds_write_b16 v3, v1 offset:512
	s_waitcnt lgkmcnt(0)
	s_barrier
	s_and_saveexec_b64 s[12:13], s[0:1]
	s_cbranch_execz .LBB68_14
; %bb.13:
	ds_read_u16 v2, v3 offset:514
	s_waitcnt lgkmcnt(0)
	v_cmp_lt_f16_e64 s[0:1], v2, v1
	s_orn2_b64 s[6:7], s[0:1], exec
.LBB68_14:
	s_or_b64 exec, exec, s[12:13]
	v_cndmask_b32_e64 v2, 0, 1, vcc
	s_cbranch_execnz .LBB68_27
.LBB68_15:
	s_cmp_eq_u32 s14, 1
	v_cmp_ne_u32_e32 vcc, 0, v0
	s_cbranch_scc1 .LBB68_21
; %bb.16:
	s_add_i32 s0, s4, 0x100
	s_mov_b32 s1, 0
	s_lshl_b64 s[0:1], s[0:1], 1
	s_add_u32 s0, s8, s0
	s_addc_u32 s1, s9, s1
	v_mov_b32_e32 v2, 0
	global_load_ushort v4, v2, s[0:1]
	v_mov_b32_e32 v2, 1
	s_waitcnt vmcnt(1)
	ds_write_b16 v3, v1
	s_waitcnt lgkmcnt(0)
	s_barrier
	s_and_saveexec_b64 s[0:1], vcc
	s_cbranch_execz .LBB68_18
; %bb.17:
	v_add_u32_e32 v2, -2, v3
	ds_read_u16 v2, v2
	s_waitcnt lgkmcnt(0)
	v_cmp_gt_f16_e32 vcc, v2, v1
	v_cndmask_b32_e64 v2, 0, 1, vcc
.LBB68_18:
	s_or_b64 exec, exec, s[0:1]
	s_movk_i32 s0, 0xff
	v_cmp_ne_u32_e32 vcc, s0, v0
	ds_write_b16 v3, v1 offset:512
	s_waitcnt lgkmcnt(0)
	s_barrier
	s_and_saveexec_b64 s[0:1], vcc
	s_cbranch_execz .LBB68_20
; %bb.19:
	s_waitcnt vmcnt(0)
	ds_read_u16 v4, v3 offset:514
.LBB68_20:
	s_or_b64 exec, exec, s[0:1]
	s_waitcnt vmcnt(0) lgkmcnt(0)
	v_cmp_lt_f16_e64 s[6:7], v4, v1
	s_branch .LBB68_27
.LBB68_21:
                                        ; implicit-def: $sgpr6_sgpr7
                                        ; implicit-def: $vgpr2
	s_cbranch_execz .LBB68_27
; %bb.22:
	s_add_i32 s0, s4, -1
	s_mov_b32 s1, 0
	s_lshl_b64 s[6:7], s[0:1], 1
	s_add_u32 s6, s8, s6
	s_addc_u32 s7, s9, s7
	s_add_i32 s0, s4, 0x100
	s_lshl_b64 s[0:1], s[0:1], 1
	v_mov_b32_e32 v5, 0
	s_add_u32 s0, s8, s0
	s_addc_u32 s1, s9, s1
	global_load_ushort v2, v5, s[6:7]
	global_load_ushort v4, v5, s[0:1]
	v_cmp_ne_u32_e32 vcc, 0, v0
	s_waitcnt vmcnt(2)
	ds_write_b16 v3, v1
	s_waitcnt lgkmcnt(0)
	s_barrier
	s_and_saveexec_b64 s[0:1], vcc
	s_cbranch_execz .LBB68_24
; %bb.23:
	s_waitcnt vmcnt(1)
	v_add_u32_e32 v2, -2, v3
	ds_read_u16 v2, v2
.LBB68_24:
	s_or_b64 exec, exec, s[0:1]
	s_movk_i32 s0, 0xff
	v_cmp_ne_u32_e32 vcc, s0, v0
	ds_write_b16 v3, v1 offset:512
	s_waitcnt lgkmcnt(0)
	s_barrier
	s_and_saveexec_b64 s[0:1], vcc
	s_cbranch_execz .LBB68_26
; %bb.25:
	s_waitcnt vmcnt(0)
	ds_read_u16 v4, v3 offset:514
.LBB68_26:
	s_or_b64 exec, exec, s[0:1]
	s_waitcnt vmcnt(1)
	v_cmp_gt_f16_e32 vcc, v2, v1
	v_cndmask_b32_e64 v2, 0, 1, vcc
	s_waitcnt vmcnt(0) lgkmcnt(0)
	v_cmp_lt_f16_e64 s[6:7], v4, v1
.LBB68_27:
	s_lshl_b64 s[0:1], s[4:5], 3
	s_add_u32 s4, s10, s0
	s_addc_u32 s5, s11, s1
	s_mov_b32 s8, 0
	s_add_u32 s0, s2, s0
	v_lshlrev_b32_e32 v4, 3, v0
	v_mov_b32_e32 v3, 0
	s_addc_u32 s1, s3, s1
	v_cndmask_b32_e64 v0, 0, 1, s[6:7]
	s_waitcnt vmcnt(0)
	v_mov_b32_e32 v1, s8
	global_store_dwordx2 v4, v[2:3], s[4:5]
	global_store_dwordx2 v4, v[0:1], s[0:1]
	s_endpgm
	.section	.rodata,"a",@progbits
	.p2align	6, 0x0
	.amdhsa_kernel _Z27flag_heads_and_tails_kernelI6__halfiN10test_utils4lessELj256ELj1EEvPT_PxS5_
		.amdhsa_group_segment_fixed_size 1024
		.amdhsa_private_segment_fixed_size 0
		.amdhsa_kernarg_size 24
		.amdhsa_user_sgpr_count 6
		.amdhsa_user_sgpr_private_segment_buffer 1
		.amdhsa_user_sgpr_dispatch_ptr 0
		.amdhsa_user_sgpr_queue_ptr 0
		.amdhsa_user_sgpr_kernarg_segment_ptr 1
		.amdhsa_user_sgpr_dispatch_id 0
		.amdhsa_user_sgpr_flat_scratch_init 0
		.amdhsa_user_sgpr_kernarg_preload_length 0
		.amdhsa_user_sgpr_kernarg_preload_offset 0
		.amdhsa_user_sgpr_private_segment_size 0
		.amdhsa_uses_dynamic_stack 0
		.amdhsa_system_sgpr_private_segment_wavefront_offset 0
		.amdhsa_system_sgpr_workgroup_id_x 1
		.amdhsa_system_sgpr_workgroup_id_y 0
		.amdhsa_system_sgpr_workgroup_id_z 0
		.amdhsa_system_sgpr_workgroup_info 0
		.amdhsa_system_vgpr_workitem_id 0
		.amdhsa_next_free_vgpr 6
		.amdhsa_next_free_sgpr 15
		.amdhsa_accum_offset 8
		.amdhsa_reserve_vcc 1
		.amdhsa_reserve_flat_scratch 0
		.amdhsa_float_round_mode_32 0
		.amdhsa_float_round_mode_16_64 0
		.amdhsa_float_denorm_mode_32 3
		.amdhsa_float_denorm_mode_16_64 3
		.amdhsa_dx10_clamp 1
		.amdhsa_ieee_mode 1
		.amdhsa_fp16_overflow 0
		.amdhsa_tg_split 0
		.amdhsa_exception_fp_ieee_invalid_op 0
		.amdhsa_exception_fp_denorm_src 0
		.amdhsa_exception_fp_ieee_div_zero 0
		.amdhsa_exception_fp_ieee_overflow 0
		.amdhsa_exception_fp_ieee_underflow 0
		.amdhsa_exception_fp_ieee_inexact 0
		.amdhsa_exception_int_div_zero 0
	.end_amdhsa_kernel
	.section	.text._Z27flag_heads_and_tails_kernelI6__halfiN10test_utils4lessELj256ELj1EEvPT_PxS5_,"axG",@progbits,_Z27flag_heads_and_tails_kernelI6__halfiN10test_utils4lessELj256ELj1EEvPT_PxS5_,comdat
.Lfunc_end68:
	.size	_Z27flag_heads_and_tails_kernelI6__halfiN10test_utils4lessELj256ELj1EEvPT_PxS5_, .Lfunc_end68-_Z27flag_heads_and_tails_kernelI6__halfiN10test_utils4lessELj256ELj1EEvPT_PxS5_
                                        ; -- End function
	.section	.AMDGPU.csdata,"",@progbits
; Kernel info:
; codeLenInByte = 824
; NumSgprs: 19
; NumVgprs: 6
; NumAgprs: 0
; TotalNumVgprs: 6
; ScratchSize: 0
; MemoryBound: 0
; FloatMode: 240
; IeeeMode: 1
; LDSByteSize: 1024 bytes/workgroup (compile time only)
; SGPRBlocks: 2
; VGPRBlocks: 0
; NumSGPRsForWavesPerEU: 19
; NumVGPRsForWavesPerEU: 6
; AccumOffset: 8
; Occupancy: 8
; WaveLimiterHint : 0
; COMPUTE_PGM_RSRC2:SCRATCH_EN: 0
; COMPUTE_PGM_RSRC2:USER_SGPR: 6
; COMPUTE_PGM_RSRC2:TRAP_HANDLER: 0
; COMPUTE_PGM_RSRC2:TGID_X_EN: 1
; COMPUTE_PGM_RSRC2:TGID_Y_EN: 0
; COMPUTE_PGM_RSRC2:TGID_Z_EN: 0
; COMPUTE_PGM_RSRC2:TIDIG_COMP_CNT: 0
; COMPUTE_PGM_RSRC3_GFX90A:ACCUM_OFFSET: 1
; COMPUTE_PGM_RSRC3_GFX90A:TG_SPLIT: 0
	.section	.text._Z27flag_heads_and_tails_kernelIfiN10test_utils4lessELj256ELj1EEvPT_PxS4_,"axG",@progbits,_Z27flag_heads_and_tails_kernelIfiN10test_utils4lessELj256ELj1EEvPT_PxS4_,comdat
	.protected	_Z27flag_heads_and_tails_kernelIfiN10test_utils4lessELj256ELj1EEvPT_PxS4_ ; -- Begin function _Z27flag_heads_and_tails_kernelIfiN10test_utils4lessELj256ELj1EEvPT_PxS4_
	.globl	_Z27flag_heads_and_tails_kernelIfiN10test_utils4lessELj256ELj1EEvPT_PxS4_
	.p2align	8
	.type	_Z27flag_heads_and_tails_kernelIfiN10test_utils4lessELj256ELj1EEvPT_PxS4_,@function
_Z27flag_heads_and_tails_kernelIfiN10test_utils4lessELj256ELj1EEvPT_PxS4_: ; @_Z27flag_heads_and_tails_kernelIfiN10test_utils4lessELj256ELj1EEvPT_PxS4_
; %bb.0:
	s_load_dwordx4 s[8:11], s[4:5], 0x0
	s_load_dwordx2 s[2:3], s[4:5], 0x10
	s_lshl_b32 s4, s6, 8
	s_mov_b32 s5, 0
	s_lshl_b64 s[0:1], s[4:5], 2
	s_waitcnt lgkmcnt(0)
	s_add_u32 s0, s8, s0
	s_addc_u32 s1, s9, s1
	v_lshlrev_b32_e32 v3, 2, v0
	global_load_dword v1, v3, s[0:1]
	s_and_b32 s14, s6, 3
	s_cmp_lt_i32 s14, 2
	s_cbranch_scc1 .LBB69_8
; %bb.1:
	s_cmp_gt_i32 s14, 2
	s_cbranch_scc0 .LBB69_9
; %bb.2:
	v_cmp_ne_u32_e32 vcc, 0, v0
	v_mov_b32_e32 v2, 1
	s_waitcnt vmcnt(0)
	ds_write_b32 v3, v1
	s_waitcnt lgkmcnt(0)
	s_barrier
	s_and_saveexec_b64 s[0:1], vcc
	s_cbranch_execz .LBB69_4
; %bb.3:
	v_add_u32_e32 v2, -4, v3
	ds_read_b32 v2, v2
	s_waitcnt lgkmcnt(0)
	v_cmp_gt_f32_e32 vcc, v2, v1
	v_cndmask_b32_e64 v2, 0, 1, vcc
.LBB69_4:
	s_or_b64 exec, exec, s[0:1]
	s_movk_i32 s0, 0xff
	v_cmp_ne_u32_e32 vcc, s0, v0
	s_mov_b64 s[6:7], -1
	ds_write_b32 v3, v1 offset:1024
	s_waitcnt lgkmcnt(0)
	s_barrier
	s_and_saveexec_b64 s[0:1], vcc
	s_cbranch_execz .LBB69_6
; %bb.5:
	ds_read_b32 v4, v3 offset:1028
	s_waitcnt lgkmcnt(0)
	v_cmp_lt_f32_e32 vcc, v4, v1
	s_orn2_b64 s[6:7], vcc, exec
.LBB69_6:
	s_or_b64 exec, exec, s[0:1]
.LBB69_7:
	s_cbranch_execz .LBB69_15
	s_branch .LBB69_27
.LBB69_8:
                                        ; implicit-def: $sgpr6_sgpr7
                                        ; implicit-def: $vgpr2
	s_branch .LBB69_15
.LBB69_9:
                                        ; implicit-def: $sgpr6_sgpr7
                                        ; implicit-def: $vgpr2
	s_cbranch_execz .LBB69_7
; %bb.10:
	s_add_i32 s0, s4, -1
	s_mov_b32 s1, 0
	s_lshl_b64 s[0:1], s[0:1], 2
	s_add_u32 s0, s8, s0
	s_addc_u32 s1, s9, s1
	s_load_dword s0, s[0:1], 0x0
	v_cmp_ne_u32_e32 vcc, 0, v0
	s_waitcnt vmcnt(0)
	ds_write_b32 v3, v1
	s_waitcnt lgkmcnt(0)
	s_barrier
	v_mov_b32_e32 v2, s0
	s_and_saveexec_b64 s[0:1], vcc
	s_cbranch_execz .LBB69_12
; %bb.11:
	v_add_u32_e32 v2, -4, v3
	ds_read_b32 v2, v2
.LBB69_12:
	s_or_b64 exec, exec, s[0:1]
	s_movk_i32 s0, 0xff
	s_waitcnt lgkmcnt(0)
	v_cmp_gt_f32_e32 vcc, v2, v1
	v_cmp_ne_u32_e64 s[0:1], s0, v0
	s_mov_b64 s[6:7], -1
	ds_write_b32 v3, v1 offset:1024
	s_waitcnt lgkmcnt(0)
	s_barrier
	s_and_saveexec_b64 s[12:13], s[0:1]
	s_cbranch_execz .LBB69_14
; %bb.13:
	ds_read_b32 v2, v3 offset:1028
	s_waitcnt lgkmcnt(0)
	v_cmp_lt_f32_e64 s[0:1], v2, v1
	s_orn2_b64 s[6:7], s[0:1], exec
.LBB69_14:
	s_or_b64 exec, exec, s[12:13]
	v_cndmask_b32_e64 v2, 0, 1, vcc
	s_cbranch_execnz .LBB69_27
.LBB69_15:
	s_cmp_eq_u32 s14, 1
	v_cmp_ne_u32_e32 vcc, 0, v0
	s_cbranch_scc1 .LBB69_21
; %bb.16:
	s_add_i32 s0, s4, 0x100
	s_mov_b32 s1, 0
	s_lshl_b64 s[0:1], s[0:1], 2
	s_add_u32 s0, s8, s0
	s_addc_u32 s1, s9, s1
	s_load_dword s6, s[0:1], 0x0
	v_mov_b32_e32 v2, 1
	s_waitcnt vmcnt(0)
	ds_write_b32 v3, v1
	s_waitcnt lgkmcnt(0)
	s_barrier
	s_and_saveexec_b64 s[0:1], vcc
	s_cbranch_execz .LBB69_18
; %bb.17:
	v_add_u32_e32 v2, -4, v3
	ds_read_b32 v2, v2
	s_waitcnt lgkmcnt(0)
	v_cmp_gt_f32_e32 vcc, v2, v1
	v_cndmask_b32_e64 v2, 0, 1, vcc
.LBB69_18:
	s_or_b64 exec, exec, s[0:1]
	s_movk_i32 s0, 0xff
	v_cmp_ne_u32_e32 vcc, s0, v0
	v_mov_b32_e32 v4, s6
	ds_write_b32 v3, v1 offset:1024
	s_waitcnt lgkmcnt(0)
	s_barrier
	s_and_saveexec_b64 s[0:1], vcc
	s_cbranch_execz .LBB69_20
; %bb.19:
	ds_read_b32 v4, v3 offset:1028
.LBB69_20:
	s_or_b64 exec, exec, s[0:1]
	s_waitcnt lgkmcnt(0)
	v_cmp_lt_f32_e64 s[6:7], v4, v1
	s_branch .LBB69_27
.LBB69_21:
                                        ; implicit-def: $sgpr6_sgpr7
                                        ; implicit-def: $vgpr2
	s_cbranch_execz .LBB69_27
; %bb.22:
	s_add_i32 s0, s4, -1
	s_mov_b32 s1, 0
	s_lshl_b64 s[6:7], s[0:1], 2
	s_add_u32 s12, s8, s6
	s_addc_u32 s13, s9, s7
	s_add_i32 s0, s4, 0x100
	s_lshl_b64 s[0:1], s[0:1], 2
	s_add_u32 s0, s8, s0
	s_addc_u32 s1, s9, s1
	s_load_dword s7, s[12:13], 0x0
	s_load_dword s6, s[0:1], 0x0
	v_cmp_ne_u32_e32 vcc, 0, v0
	s_waitcnt vmcnt(0)
	ds_write_b32 v3, v1
	s_waitcnt lgkmcnt(0)
	v_mov_b32_e32 v2, s7
	s_barrier
	s_and_saveexec_b64 s[0:1], vcc
	s_cbranch_execz .LBB69_24
; %bb.23:
	v_add_u32_e32 v2, -4, v3
	ds_read_b32 v2, v2
.LBB69_24:
	s_or_b64 exec, exec, s[0:1]
	s_movk_i32 s0, 0xff
	v_cmp_ne_u32_e32 vcc, s0, v0
	v_mov_b32_e32 v4, s6
	ds_write_b32 v3, v1 offset:1024
	s_waitcnt lgkmcnt(0)
	s_barrier
	s_and_saveexec_b64 s[0:1], vcc
	s_cbranch_execz .LBB69_26
; %bb.25:
	ds_read_b32 v4, v3 offset:1028
.LBB69_26:
	s_or_b64 exec, exec, s[0:1]
	v_cmp_gt_f32_e32 vcc, v2, v1
	v_cndmask_b32_e64 v2, 0, 1, vcc
	s_waitcnt lgkmcnt(0)
	v_cmp_lt_f32_e64 s[6:7], v4, v1
.LBB69_27:
	s_lshl_b64 s[0:1], s[4:5], 3
	s_add_u32 s4, s10, s0
	s_addc_u32 s5, s11, s1
	s_mov_b32 s8, 0
	s_add_u32 s0, s2, s0
	v_lshlrev_b32_e32 v4, 3, v0
	v_mov_b32_e32 v3, 0
	s_addc_u32 s1, s3, s1
	v_cndmask_b32_e64 v0, 0, 1, s[6:7]
	s_waitcnt vmcnt(0)
	v_mov_b32_e32 v1, s8
	global_store_dwordx2 v4, v[2:3], s[4:5]
	global_store_dwordx2 v4, v[0:1], s[0:1]
	s_endpgm
	.section	.rodata,"a",@progbits
	.p2align	6, 0x0
	.amdhsa_kernel _Z27flag_heads_and_tails_kernelIfiN10test_utils4lessELj256ELj1EEvPT_PxS4_
		.amdhsa_group_segment_fixed_size 2048
		.amdhsa_private_segment_fixed_size 0
		.amdhsa_kernarg_size 24
		.amdhsa_user_sgpr_count 6
		.amdhsa_user_sgpr_private_segment_buffer 1
		.amdhsa_user_sgpr_dispatch_ptr 0
		.amdhsa_user_sgpr_queue_ptr 0
		.amdhsa_user_sgpr_kernarg_segment_ptr 1
		.amdhsa_user_sgpr_dispatch_id 0
		.amdhsa_user_sgpr_flat_scratch_init 0
		.amdhsa_user_sgpr_kernarg_preload_length 0
		.amdhsa_user_sgpr_kernarg_preload_offset 0
		.amdhsa_user_sgpr_private_segment_size 0
		.amdhsa_uses_dynamic_stack 0
		.amdhsa_system_sgpr_private_segment_wavefront_offset 0
		.amdhsa_system_sgpr_workgroup_id_x 1
		.amdhsa_system_sgpr_workgroup_id_y 0
		.amdhsa_system_sgpr_workgroup_id_z 0
		.amdhsa_system_sgpr_workgroup_info 0
		.amdhsa_system_vgpr_workitem_id 0
		.amdhsa_next_free_vgpr 5
		.amdhsa_next_free_sgpr 15
		.amdhsa_accum_offset 8
		.amdhsa_reserve_vcc 1
		.amdhsa_reserve_flat_scratch 0
		.amdhsa_float_round_mode_32 0
		.amdhsa_float_round_mode_16_64 0
		.amdhsa_float_denorm_mode_32 3
		.amdhsa_float_denorm_mode_16_64 3
		.amdhsa_dx10_clamp 1
		.amdhsa_ieee_mode 1
		.amdhsa_fp16_overflow 0
		.amdhsa_tg_split 0
		.amdhsa_exception_fp_ieee_invalid_op 0
		.amdhsa_exception_fp_denorm_src 0
		.amdhsa_exception_fp_ieee_div_zero 0
		.amdhsa_exception_fp_ieee_overflow 0
		.amdhsa_exception_fp_ieee_underflow 0
		.amdhsa_exception_fp_ieee_inexact 0
		.amdhsa_exception_int_div_zero 0
	.end_amdhsa_kernel
	.section	.text._Z27flag_heads_and_tails_kernelIfiN10test_utils4lessELj256ELj1EEvPT_PxS4_,"axG",@progbits,_Z27flag_heads_and_tails_kernelIfiN10test_utils4lessELj256ELj1EEvPT_PxS4_,comdat
.Lfunc_end69:
	.size	_Z27flag_heads_and_tails_kernelIfiN10test_utils4lessELj256ELj1EEvPT_PxS4_, .Lfunc_end69-_Z27flag_heads_and_tails_kernelIfiN10test_utils4lessELj256ELj1EEvPT_PxS4_
                                        ; -- End function
	.section	.AMDGPU.csdata,"",@progbits
; Kernel info:
; codeLenInByte = 808
; NumSgprs: 19
; NumVgprs: 5
; NumAgprs: 0
; TotalNumVgprs: 5
; ScratchSize: 0
; MemoryBound: 0
; FloatMode: 240
; IeeeMode: 1
; LDSByteSize: 2048 bytes/workgroup (compile time only)
; SGPRBlocks: 2
; VGPRBlocks: 0
; NumSGPRsForWavesPerEU: 19
; NumVGPRsForWavesPerEU: 5
; AccumOffset: 8
; Occupancy: 8
; WaveLimiterHint : 0
; COMPUTE_PGM_RSRC2:SCRATCH_EN: 0
; COMPUTE_PGM_RSRC2:USER_SGPR: 6
; COMPUTE_PGM_RSRC2:TRAP_HANDLER: 0
; COMPUTE_PGM_RSRC2:TGID_X_EN: 1
; COMPUTE_PGM_RSRC2:TGID_Y_EN: 0
; COMPUTE_PGM_RSRC2:TGID_Z_EN: 0
; COMPUTE_PGM_RSRC2:TIDIG_COMP_CNT: 0
; COMPUTE_PGM_RSRC3_GFX90A:ACCUM_OFFSET: 1
; COMPUTE_PGM_RSRC3_GFX90A:TG_SPLIT: 0
	.section	.text._Z27flag_heads_and_tails_kernelIibN6hipcub10InequalityELj128ELj1EEvPT_PxS4_,"axG",@progbits,_Z27flag_heads_and_tails_kernelIibN6hipcub10InequalityELj128ELj1EEvPT_PxS4_,comdat
	.protected	_Z27flag_heads_and_tails_kernelIibN6hipcub10InequalityELj128ELj1EEvPT_PxS4_ ; -- Begin function _Z27flag_heads_and_tails_kernelIibN6hipcub10InequalityELj128ELj1EEvPT_PxS4_
	.globl	_Z27flag_heads_and_tails_kernelIibN6hipcub10InequalityELj128ELj1EEvPT_PxS4_
	.p2align	8
	.type	_Z27flag_heads_and_tails_kernelIibN6hipcub10InequalityELj128ELj1EEvPT_PxS4_,@function
_Z27flag_heads_and_tails_kernelIibN6hipcub10InequalityELj128ELj1EEvPT_PxS4_: ; @_Z27flag_heads_and_tails_kernelIibN6hipcub10InequalityELj128ELj1EEvPT_PxS4_
; %bb.0:
	s_load_dwordx4 s[8:11], s[4:5], 0x0
	s_load_dwordx2 s[2:3], s[4:5], 0x10
	s_lshl_b32 s4, s6, 7
	s_mov_b32 s5, 0
	s_lshl_b64 s[0:1], s[4:5], 2
	s_waitcnt lgkmcnt(0)
	s_add_u32 s0, s8, s0
	s_addc_u32 s1, s9, s1
	v_lshlrev_b32_e32 v2, 2, v0
	global_load_dword v1, v2, s[0:1]
	s_and_b32 s14, s6, 3
	s_cmp_lt_i32 s14, 2
	s_cbranch_scc1 .LBB70_8
; %bb.1:
	s_cmp_gt_i32 s14, 2
	s_cbranch_scc0 .LBB70_9
; %bb.2:
	v_cmp_ne_u32_e32 vcc, 0, v0
	v_mov_b32_e32 v3, 1
	s_waitcnt vmcnt(0)
	ds_write_b32 v2, v1
	s_waitcnt lgkmcnt(0)
	s_barrier
	s_and_saveexec_b64 s[0:1], vcc
	s_cbranch_execz .LBB70_4
; %bb.3:
	v_add_u32_e32 v3, -4, v2
	ds_read_b32 v3, v3
	s_waitcnt lgkmcnt(0)
	v_cmp_ne_u32_e32 vcc, v3, v1
	v_cndmask_b32_e64 v3, 0, 1, vcc
.LBB70_4:
	s_or_b64 exec, exec, s[0:1]
	s_movk_i32 s0, 0x7f
	v_cmp_ne_u32_e32 vcc, s0, v0
	s_mov_b64 s[6:7], -1
	ds_write_b32 v2, v1 offset:512
	s_waitcnt lgkmcnt(0)
	s_barrier
	s_and_saveexec_b64 s[0:1], vcc
	s_cbranch_execz .LBB70_6
; %bb.5:
	ds_read_b32 v4, v2 offset:516
	s_waitcnt lgkmcnt(0)
	v_cmp_ne_u32_e32 vcc, v4, v1
	s_orn2_b64 s[6:7], vcc, exec
.LBB70_6:
	s_or_b64 exec, exec, s[0:1]
.LBB70_7:
	s_cbranch_execz .LBB70_15
	s_branch .LBB70_27
.LBB70_8:
                                        ; implicit-def: $sgpr6_sgpr7
                                        ; implicit-def: $vgpr3
	s_branch .LBB70_15
.LBB70_9:
                                        ; implicit-def: $sgpr6_sgpr7
                                        ; implicit-def: $vgpr3
	s_cbranch_execz .LBB70_7
; %bb.10:
	s_add_i32 s0, s4, -1
	s_mov_b32 s1, 0
	s_lshl_b64 s[0:1], s[0:1], 2
	s_add_u32 s0, s8, s0
	s_addc_u32 s1, s9, s1
	s_load_dword s0, s[0:1], 0x0
	v_cmp_ne_u32_e32 vcc, 0, v0
	s_waitcnt vmcnt(0)
	ds_write_b32 v2, v1
	s_waitcnt lgkmcnt(0)
	s_barrier
	v_mov_b32_e32 v3, s0
	s_and_saveexec_b64 s[0:1], vcc
	s_cbranch_execz .LBB70_12
; %bb.11:
	v_add_u32_e32 v3, -4, v2
	ds_read_b32 v3, v3
.LBB70_12:
	s_or_b64 exec, exec, s[0:1]
	s_movk_i32 s0, 0x7f
	s_waitcnt lgkmcnt(0)
	v_cmp_ne_u32_e32 vcc, v3, v1
	v_cmp_ne_u32_e64 s[0:1], s0, v0
	s_mov_b64 s[6:7], -1
	ds_write_b32 v2, v1 offset:512
	s_waitcnt lgkmcnt(0)
	s_barrier
	s_and_saveexec_b64 s[12:13], s[0:1]
	s_cbranch_execz .LBB70_14
; %bb.13:
	ds_read_b32 v3, v2 offset:516
	s_waitcnt lgkmcnt(0)
	v_cmp_ne_u32_e64 s[0:1], v3, v1
	s_orn2_b64 s[6:7], s[0:1], exec
.LBB70_14:
	s_or_b64 exec, exec, s[12:13]
	v_cndmask_b32_e64 v3, 0, 1, vcc
	s_cbranch_execnz .LBB70_27
.LBB70_15:
	s_cmp_eq_u32 s14, 1
	v_cmp_ne_u32_e32 vcc, 0, v0
	s_cbranch_scc1 .LBB70_21
; %bb.16:
	s_add_i32 s0, s4, 0x80
	s_mov_b32 s1, 0
	s_lshl_b64 s[0:1], s[0:1], 2
	s_add_u32 s0, s8, s0
	s_addc_u32 s1, s9, s1
	s_load_dword s6, s[0:1], 0x0
	v_mov_b32_e32 v3, 1
	s_waitcnt vmcnt(0)
	ds_write_b32 v2, v1
	s_waitcnt lgkmcnt(0)
	s_barrier
	s_and_saveexec_b64 s[0:1], vcc
	s_cbranch_execz .LBB70_18
; %bb.17:
	v_add_u32_e32 v3, -4, v2
	ds_read_b32 v3, v3
	s_waitcnt lgkmcnt(0)
	v_cmp_ne_u32_e32 vcc, v3, v1
	v_cndmask_b32_e64 v3, 0, 1, vcc
.LBB70_18:
	s_or_b64 exec, exec, s[0:1]
	s_movk_i32 s0, 0x7f
	v_cmp_ne_u32_e32 vcc, s0, v0
	v_mov_b32_e32 v4, s6
	ds_write_b32 v2, v1 offset:512
	s_waitcnt lgkmcnt(0)
	s_barrier
	s_and_saveexec_b64 s[0:1], vcc
	s_cbranch_execz .LBB70_20
; %bb.19:
	ds_read_b32 v4, v2 offset:516
.LBB70_20:
	s_or_b64 exec, exec, s[0:1]
	s_waitcnt lgkmcnt(0)
	v_cmp_ne_u32_e64 s[6:7], v4, v1
	s_branch .LBB70_27
.LBB70_21:
                                        ; implicit-def: $sgpr6_sgpr7
                                        ; implicit-def: $vgpr3
	s_cbranch_execz .LBB70_27
; %bb.22:
	s_add_i32 s0, s4, -1
	s_mov_b32 s1, 0
	s_lshl_b64 s[6:7], s[0:1], 2
	s_add_u32 s12, s8, s6
	s_addc_u32 s13, s9, s7
	s_add_i32 s0, s4, 0x80
	s_lshl_b64 s[0:1], s[0:1], 2
	s_add_u32 s0, s8, s0
	s_addc_u32 s1, s9, s1
	s_load_dword s7, s[12:13], 0x0
	s_load_dword s6, s[0:1], 0x0
	v_cmp_ne_u32_e32 vcc, 0, v0
	s_waitcnt vmcnt(0)
	ds_write_b32 v2, v1
	s_waitcnt lgkmcnt(0)
	v_mov_b32_e32 v3, s7
	s_barrier
	s_and_saveexec_b64 s[0:1], vcc
	s_cbranch_execz .LBB70_24
; %bb.23:
	v_add_u32_e32 v3, -4, v2
	ds_read_b32 v3, v3
.LBB70_24:
	s_or_b64 exec, exec, s[0:1]
	s_movk_i32 s0, 0x7f
	v_cmp_ne_u32_e32 vcc, s0, v0
	v_mov_b32_e32 v4, s6
	ds_write_b32 v2, v1 offset:512
	s_waitcnt lgkmcnt(0)
	s_barrier
	s_and_saveexec_b64 s[0:1], vcc
	s_cbranch_execz .LBB70_26
; %bb.25:
	ds_read_b32 v4, v2 offset:516
.LBB70_26:
	s_or_b64 exec, exec, s[0:1]
	v_cmp_ne_u32_e32 vcc, v3, v1
	v_cndmask_b32_e64 v3, 0, 1, vcc
	s_waitcnt lgkmcnt(0)
	v_cmp_ne_u32_e64 s[6:7], v4, v1
.LBB70_27:
	s_lshl_b64 s[0:1], s[4:5], 3
	s_add_u32 s4, s10, s0
	s_addc_u32 s5, s11, s1
	v_lshlrev_b32_e32 v2, 3, v0
	v_and_b32_e32 v0, 0xff, v3
	s_waitcnt vmcnt(0)
	v_mov_b32_e32 v1, 0
	s_add_u32 s0, s2, s0
	s_mov_b32 s2, 0
	global_store_dwordx2 v2, v[0:1], s[4:5]
	s_addc_u32 s1, s3, s1
	v_cndmask_b32_e64 v0, 0, 1, s[6:7]
	v_mov_b32_e32 v1, s2
	global_store_dwordx2 v2, v[0:1], s[0:1]
	s_endpgm
	.section	.rodata,"a",@progbits
	.p2align	6, 0x0
	.amdhsa_kernel _Z27flag_heads_and_tails_kernelIibN6hipcub10InequalityELj128ELj1EEvPT_PxS4_
		.amdhsa_group_segment_fixed_size 1024
		.amdhsa_private_segment_fixed_size 0
		.amdhsa_kernarg_size 24
		.amdhsa_user_sgpr_count 6
		.amdhsa_user_sgpr_private_segment_buffer 1
		.amdhsa_user_sgpr_dispatch_ptr 0
		.amdhsa_user_sgpr_queue_ptr 0
		.amdhsa_user_sgpr_kernarg_segment_ptr 1
		.amdhsa_user_sgpr_dispatch_id 0
		.amdhsa_user_sgpr_flat_scratch_init 0
		.amdhsa_user_sgpr_kernarg_preload_length 0
		.amdhsa_user_sgpr_kernarg_preload_offset 0
		.amdhsa_user_sgpr_private_segment_size 0
		.amdhsa_uses_dynamic_stack 0
		.amdhsa_system_sgpr_private_segment_wavefront_offset 0
		.amdhsa_system_sgpr_workgroup_id_x 1
		.amdhsa_system_sgpr_workgroup_id_y 0
		.amdhsa_system_sgpr_workgroup_id_z 0
		.amdhsa_system_sgpr_workgroup_info 0
		.amdhsa_system_vgpr_workitem_id 0
		.amdhsa_next_free_vgpr 5
		.amdhsa_next_free_sgpr 15
		.amdhsa_accum_offset 8
		.amdhsa_reserve_vcc 1
		.amdhsa_reserve_flat_scratch 0
		.amdhsa_float_round_mode_32 0
		.amdhsa_float_round_mode_16_64 0
		.amdhsa_float_denorm_mode_32 3
		.amdhsa_float_denorm_mode_16_64 3
		.amdhsa_dx10_clamp 1
		.amdhsa_ieee_mode 1
		.amdhsa_fp16_overflow 0
		.amdhsa_tg_split 0
		.amdhsa_exception_fp_ieee_invalid_op 0
		.amdhsa_exception_fp_denorm_src 0
		.amdhsa_exception_fp_ieee_div_zero 0
		.amdhsa_exception_fp_ieee_overflow 0
		.amdhsa_exception_fp_ieee_underflow 0
		.amdhsa_exception_fp_ieee_inexact 0
		.amdhsa_exception_int_div_zero 0
	.end_amdhsa_kernel
	.section	.text._Z27flag_heads_and_tails_kernelIibN6hipcub10InequalityELj128ELj1EEvPT_PxS4_,"axG",@progbits,_Z27flag_heads_and_tails_kernelIibN6hipcub10InequalityELj128ELj1EEvPT_PxS4_,comdat
.Lfunc_end70:
	.size	_Z27flag_heads_and_tails_kernelIibN6hipcub10InequalityELj128ELj1EEvPT_PxS4_, .Lfunc_end70-_Z27flag_heads_and_tails_kernelIibN6hipcub10InequalityELj128ELj1EEvPT_PxS4_
                                        ; -- End function
	.section	.AMDGPU.csdata,"",@progbits
; Kernel info:
; codeLenInByte = 816
; NumSgprs: 19
; NumVgprs: 5
; NumAgprs: 0
; TotalNumVgprs: 5
; ScratchSize: 0
; MemoryBound: 0
; FloatMode: 240
; IeeeMode: 1
; LDSByteSize: 1024 bytes/workgroup (compile time only)
; SGPRBlocks: 2
; VGPRBlocks: 0
; NumSGPRsForWavesPerEU: 19
; NumVGPRsForWavesPerEU: 5
; AccumOffset: 8
; Occupancy: 8
; WaveLimiterHint : 0
; COMPUTE_PGM_RSRC2:SCRATCH_EN: 0
; COMPUTE_PGM_RSRC2:USER_SGPR: 6
; COMPUTE_PGM_RSRC2:TRAP_HANDLER: 0
; COMPUTE_PGM_RSRC2:TGID_X_EN: 1
; COMPUTE_PGM_RSRC2:TGID_Y_EN: 0
; COMPUTE_PGM_RSRC2:TGID_Z_EN: 0
; COMPUTE_PGM_RSRC2:TIDIG_COMP_CNT: 0
; COMPUTE_PGM_RSRC3_GFX90A:ACCUM_OFFSET: 1
; COMPUTE_PGM_RSRC3_GFX90A:TG_SPLIT: 0
	.section	.text._Z27flag_heads_and_tails_kernelIjiN6hipcub8EqualityELj64ELj1EEvPT_PxS4_,"axG",@progbits,_Z27flag_heads_and_tails_kernelIjiN6hipcub8EqualityELj64ELj1EEvPT_PxS4_,comdat
	.protected	_Z27flag_heads_and_tails_kernelIjiN6hipcub8EqualityELj64ELj1EEvPT_PxS4_ ; -- Begin function _Z27flag_heads_and_tails_kernelIjiN6hipcub8EqualityELj64ELj1EEvPT_PxS4_
	.globl	_Z27flag_heads_and_tails_kernelIjiN6hipcub8EqualityELj64ELj1EEvPT_PxS4_
	.p2align	8
	.type	_Z27flag_heads_and_tails_kernelIjiN6hipcub8EqualityELj64ELj1EEvPT_PxS4_,@function
_Z27flag_heads_and_tails_kernelIjiN6hipcub8EqualityELj64ELj1EEvPT_PxS4_: ; @_Z27flag_heads_and_tails_kernelIjiN6hipcub8EqualityELj64ELj1EEvPT_PxS4_
; %bb.0:
	s_load_dwordx4 s[8:11], s[4:5], 0x0
	s_load_dwordx2 s[2:3], s[4:5], 0x10
	s_lshl_b32 s4, s6, 6
	s_mov_b32 s5, 0
	s_lshl_b64 s[0:1], s[4:5], 2
	s_waitcnt lgkmcnt(0)
	s_add_u32 s0, s8, s0
	s_addc_u32 s1, s9, s1
	v_lshlrev_b32_e32 v3, 2, v0
	global_load_dword v1, v3, s[0:1]
	s_and_b32 s14, s6, 3
	s_cmp_lt_i32 s14, 2
	s_cbranch_scc1 .LBB71_8
; %bb.1:
	s_cmp_gt_i32 s14, 2
	s_cbranch_scc0 .LBB71_9
; %bb.2:
	v_cmp_ne_u32_e32 vcc, 0, v0
	v_mov_b32_e32 v2, 1
	s_waitcnt vmcnt(0)
	ds_write_b32 v3, v1
	s_waitcnt lgkmcnt(0)
	; wave barrier
	s_waitcnt lgkmcnt(0)
	s_and_saveexec_b64 s[0:1], vcc
	s_cbranch_execz .LBB71_4
; %bb.3:
	v_add_u32_e32 v2, -4, v3
	ds_read_b32 v2, v2
	s_waitcnt lgkmcnt(0)
	v_cmp_eq_u32_e32 vcc, v2, v1
	v_cndmask_b32_e64 v2, 0, 1, vcc
.LBB71_4:
	s_or_b64 exec, exec, s[0:1]
	v_cmp_ne_u32_e32 vcc, 63, v0
	s_mov_b64 s[6:7], -1
	ds_write_b32 v3, v1 offset:256
	s_waitcnt lgkmcnt(0)
	; wave barrier
	s_waitcnt lgkmcnt(0)
	s_and_saveexec_b64 s[0:1], vcc
	s_cbranch_execz .LBB71_6
; %bb.5:
	ds_read_b32 v4, v3 offset:260
	s_waitcnt lgkmcnt(0)
	v_cmp_eq_u32_e32 vcc, v4, v1
	s_orn2_b64 s[6:7], vcc, exec
.LBB71_6:
	s_or_b64 exec, exec, s[0:1]
.LBB71_7:
	s_cbranch_execz .LBB71_15
	s_branch .LBB71_27
.LBB71_8:
                                        ; implicit-def: $sgpr6_sgpr7
                                        ; implicit-def: $vgpr2
	s_branch .LBB71_15
.LBB71_9:
                                        ; implicit-def: $sgpr6_sgpr7
                                        ; implicit-def: $vgpr2
	s_cbranch_execz .LBB71_7
; %bb.10:
	s_add_i32 s0, s4, -1
	s_mov_b32 s1, 0
	s_lshl_b64 s[0:1], s[0:1], 2
	s_add_u32 s0, s8, s0
	s_addc_u32 s1, s9, s1
	s_load_dword s0, s[0:1], 0x0
	v_cmp_ne_u32_e32 vcc, 0, v0
	s_waitcnt vmcnt(0)
	ds_write_b32 v3, v1
	s_waitcnt lgkmcnt(0)
	; wave barrier
	s_waitcnt lgkmcnt(0)
	v_mov_b32_e32 v2, s0
	s_and_saveexec_b64 s[0:1], vcc
	s_cbranch_execz .LBB71_12
; %bb.11:
	v_add_u32_e32 v2, -4, v3
	ds_read_b32 v2, v2
.LBB71_12:
	s_or_b64 exec, exec, s[0:1]
	s_waitcnt lgkmcnt(0)
	v_cmp_eq_u32_e32 vcc, v2, v1
	v_cmp_ne_u32_e64 s[0:1], 63, v0
	s_mov_b64 s[6:7], -1
	ds_write_b32 v3, v1 offset:256
	s_waitcnt lgkmcnt(0)
	; wave barrier
	s_waitcnt lgkmcnt(0)
	s_and_saveexec_b64 s[12:13], s[0:1]
	s_cbranch_execz .LBB71_14
; %bb.13:
	ds_read_b32 v2, v3 offset:260
	s_waitcnt lgkmcnt(0)
	v_cmp_eq_u32_e64 s[0:1], v2, v1
	s_orn2_b64 s[6:7], s[0:1], exec
.LBB71_14:
	s_or_b64 exec, exec, s[12:13]
	v_cndmask_b32_e64 v2, 0, 1, vcc
	s_cbranch_execnz .LBB71_27
.LBB71_15:
	s_cmp_eq_u32 s14, 1
	v_cmp_ne_u32_e32 vcc, 0, v0
	s_cbranch_scc1 .LBB71_21
; %bb.16:
	s_add_i32 s0, s4, 64
	s_mov_b32 s1, 0
	s_lshl_b64 s[0:1], s[0:1], 2
	s_add_u32 s0, s8, s0
	s_addc_u32 s1, s9, s1
	s_load_dword s6, s[0:1], 0x0
	v_mov_b32_e32 v2, 1
	s_waitcnt vmcnt(0)
	ds_write_b32 v3, v1
	s_waitcnt lgkmcnt(0)
	; wave barrier
	s_waitcnt lgkmcnt(0)
	s_and_saveexec_b64 s[0:1], vcc
	s_cbranch_execz .LBB71_18
; %bb.17:
	v_add_u32_e32 v2, -4, v3
	ds_read_b32 v2, v2
	s_waitcnt lgkmcnt(0)
	v_cmp_eq_u32_e32 vcc, v2, v1
	v_cndmask_b32_e64 v2, 0, 1, vcc
.LBB71_18:
	s_or_b64 exec, exec, s[0:1]
	v_cmp_ne_u32_e32 vcc, 63, v0
	v_mov_b32_e32 v4, s6
	ds_write_b32 v3, v1 offset:256
	s_waitcnt lgkmcnt(0)
	; wave barrier
	s_waitcnt lgkmcnt(0)
	s_and_saveexec_b64 s[0:1], vcc
	s_cbranch_execz .LBB71_20
; %bb.19:
	ds_read_b32 v4, v3 offset:260
.LBB71_20:
	s_or_b64 exec, exec, s[0:1]
	s_waitcnt lgkmcnt(0)
	v_cmp_eq_u32_e64 s[6:7], v4, v1
	s_branch .LBB71_27
.LBB71_21:
                                        ; implicit-def: $sgpr6_sgpr7
                                        ; implicit-def: $vgpr2
	s_cbranch_execz .LBB71_27
; %bb.22:
	s_add_i32 s0, s4, -1
	s_mov_b32 s1, 0
	s_lshl_b64 s[6:7], s[0:1], 2
	s_add_u32 s12, s8, s6
	s_addc_u32 s13, s9, s7
	s_add_i32 s0, s4, 64
	s_lshl_b64 s[0:1], s[0:1], 2
	s_add_u32 s0, s8, s0
	s_addc_u32 s1, s9, s1
	s_load_dword s7, s[12:13], 0x0
	s_load_dword s6, s[0:1], 0x0
	v_cmp_ne_u32_e32 vcc, 0, v0
	s_waitcnt vmcnt(0)
	ds_write_b32 v3, v1
	s_waitcnt lgkmcnt(0)
	v_mov_b32_e32 v2, s7
	; wave barrier
	s_and_saveexec_b64 s[0:1], vcc
	s_cbranch_execz .LBB71_24
; %bb.23:
	v_add_u32_e32 v2, -4, v3
	ds_read_b32 v2, v2
.LBB71_24:
	s_or_b64 exec, exec, s[0:1]
	v_cmp_ne_u32_e32 vcc, 63, v0
	v_mov_b32_e32 v4, s6
	ds_write_b32 v3, v1 offset:256
	s_waitcnt lgkmcnt(0)
	; wave barrier
	s_waitcnt lgkmcnt(0)
	s_and_saveexec_b64 s[0:1], vcc
	s_cbranch_execz .LBB71_26
; %bb.25:
	ds_read_b32 v4, v3 offset:260
.LBB71_26:
	s_or_b64 exec, exec, s[0:1]
	v_cmp_eq_u32_e32 vcc, v2, v1
	v_cndmask_b32_e64 v2, 0, 1, vcc
	s_waitcnt lgkmcnt(0)
	v_cmp_eq_u32_e64 s[6:7], v4, v1
.LBB71_27:
	s_lshl_b64 s[0:1], s[4:5], 3
	s_add_u32 s4, s10, s0
	s_addc_u32 s5, s11, s1
	s_mov_b32 s8, 0
	s_add_u32 s0, s2, s0
	v_lshlrev_b32_e32 v4, 3, v0
	v_mov_b32_e32 v3, 0
	s_addc_u32 s1, s3, s1
	v_cndmask_b32_e64 v0, 0, 1, s[6:7]
	s_waitcnt vmcnt(0)
	v_mov_b32_e32 v1, s8
	global_store_dwordx2 v4, v[2:3], s[4:5]
	global_store_dwordx2 v4, v[0:1], s[0:1]
	s_endpgm
	.section	.rodata,"a",@progbits
	.p2align	6, 0x0
	.amdhsa_kernel _Z27flag_heads_and_tails_kernelIjiN6hipcub8EqualityELj64ELj1EEvPT_PxS4_
		.amdhsa_group_segment_fixed_size 512
		.amdhsa_private_segment_fixed_size 0
		.amdhsa_kernarg_size 24
		.amdhsa_user_sgpr_count 6
		.amdhsa_user_sgpr_private_segment_buffer 1
		.amdhsa_user_sgpr_dispatch_ptr 0
		.amdhsa_user_sgpr_queue_ptr 0
		.amdhsa_user_sgpr_kernarg_segment_ptr 1
		.amdhsa_user_sgpr_dispatch_id 0
		.amdhsa_user_sgpr_flat_scratch_init 0
		.amdhsa_user_sgpr_kernarg_preload_length 0
		.amdhsa_user_sgpr_kernarg_preload_offset 0
		.amdhsa_user_sgpr_private_segment_size 0
		.amdhsa_uses_dynamic_stack 0
		.amdhsa_system_sgpr_private_segment_wavefront_offset 0
		.amdhsa_system_sgpr_workgroup_id_x 1
		.amdhsa_system_sgpr_workgroup_id_y 0
		.amdhsa_system_sgpr_workgroup_id_z 0
		.amdhsa_system_sgpr_workgroup_info 0
		.amdhsa_system_vgpr_workitem_id 0
		.amdhsa_next_free_vgpr 5
		.amdhsa_next_free_sgpr 15
		.amdhsa_accum_offset 8
		.amdhsa_reserve_vcc 1
		.amdhsa_reserve_flat_scratch 0
		.amdhsa_float_round_mode_32 0
		.amdhsa_float_round_mode_16_64 0
		.amdhsa_float_denorm_mode_32 3
		.amdhsa_float_denorm_mode_16_64 3
		.amdhsa_dx10_clamp 1
		.amdhsa_ieee_mode 1
		.amdhsa_fp16_overflow 0
		.amdhsa_tg_split 0
		.amdhsa_exception_fp_ieee_invalid_op 0
		.amdhsa_exception_fp_denorm_src 0
		.amdhsa_exception_fp_ieee_div_zero 0
		.amdhsa_exception_fp_ieee_overflow 0
		.amdhsa_exception_fp_ieee_underflow 0
		.amdhsa_exception_fp_ieee_inexact 0
		.amdhsa_exception_int_div_zero 0
	.end_amdhsa_kernel
	.section	.text._Z27flag_heads_and_tails_kernelIjiN6hipcub8EqualityELj64ELj1EEvPT_PxS4_,"axG",@progbits,_Z27flag_heads_and_tails_kernelIjiN6hipcub8EqualityELj64ELj1EEvPT_PxS4_,comdat
.Lfunc_end71:
	.size	_Z27flag_heads_and_tails_kernelIjiN6hipcub8EqualityELj64ELj1EEvPT_PxS4_, .Lfunc_end71-_Z27flag_heads_and_tails_kernelIjiN6hipcub8EqualityELj64ELj1EEvPT_PxS4_
                                        ; -- End function
	.section	.AMDGPU.csdata,"",@progbits
; Kernel info:
; codeLenInByte = 780
; NumSgprs: 19
; NumVgprs: 5
; NumAgprs: 0
; TotalNumVgprs: 5
; ScratchSize: 0
; MemoryBound: 0
; FloatMode: 240
; IeeeMode: 1
; LDSByteSize: 512 bytes/workgroup (compile time only)
; SGPRBlocks: 2
; VGPRBlocks: 0
; NumSGPRsForWavesPerEU: 19
; NumVGPRsForWavesPerEU: 5
; AccumOffset: 8
; Occupancy: 8
; WaveLimiterHint : 0
; COMPUTE_PGM_RSRC2:SCRATCH_EN: 0
; COMPUTE_PGM_RSRC2:USER_SGPR: 6
; COMPUTE_PGM_RSRC2:TRAP_HANDLER: 0
; COMPUTE_PGM_RSRC2:TGID_X_EN: 1
; COMPUTE_PGM_RSRC2:TGID_Y_EN: 0
; COMPUTE_PGM_RSRC2:TGID_Z_EN: 0
; COMPUTE_PGM_RSRC2:TIDIG_COMP_CNT: 0
; COMPUTE_PGM_RSRC3_GFX90A:ACCUM_OFFSET: 1
; COMPUTE_PGM_RSRC3_GFX90A:TG_SPLIT: 0
	.section	.text._Z20subtract_left_kernelIsbi10custom_op2Lj234ELj9EEvPKT_PT1_,"axG",@progbits,_Z20subtract_left_kernelIsbi10custom_op2Lj234ELj9EEvPKT_PT1_,comdat
	.protected	_Z20subtract_left_kernelIsbi10custom_op2Lj234ELj9EEvPKT_PT1_ ; -- Begin function _Z20subtract_left_kernelIsbi10custom_op2Lj234ELj9EEvPKT_PT1_
	.globl	_Z20subtract_left_kernelIsbi10custom_op2Lj234ELj9EEvPKT_PT1_
	.p2align	8
	.type	_Z20subtract_left_kernelIsbi10custom_op2Lj234ELj9EEvPKT_PT1_,@function
_Z20subtract_left_kernelIsbi10custom_op2Lj234ELj9EEvPKT_PT1_: ; @_Z20subtract_left_kernelIsbi10custom_op2Lj234ELj9EEvPKT_PT1_
; %bb.0:
	s_load_dwordx4 s[0:3], s[4:5], 0x0
	s_mul_i32 s4, s6, 0x83a
	s_mov_b32 s5, 0
	s_lshl_b64 s[8:9], s[4:5], 1
	v_mul_u32_u24_e32 v1, 9, v0
	s_waitcnt lgkmcnt(0)
	s_add_u32 s8, s0, s8
	s_addc_u32 s9, s1, s9
	v_lshlrev_b32_e32 v6, 1, v1
	global_load_dwordx4 v[2:5], v6, s[8:9]
	global_load_ushort v7, v6, s[8:9] offset:16
	s_bitcmp0_b32 s6, 0
	v_lshlrev_b32_e32 v6, 1, v0
	v_cmp_ne_u32_e32 vcc, 0, v0
	s_cbranch_scc1 .LBB72_4
; %bb.1:
	s_add_i32 s6, s4, -1
	s_mov_b32 s7, s5
	s_lshl_b64 s[6:7], s[6:7], 1
	s_add_u32 s0, s0, s6
	s_addc_u32 s1, s1, s7
	v_mov_b32_e32 v8, 0
	global_load_ushort v9, v8, s[0:1]
	s_waitcnt vmcnt(1)
	ds_write_b16 v6, v7
	s_waitcnt lgkmcnt(0)
	s_barrier
	s_and_saveexec_b64 s[0:1], vcc
	s_cbranch_execz .LBB72_3
; %bb.2:
	v_add_u32_e32 v8, -2, v6
	s_waitcnt vmcnt(0)
	ds_read_u16 v9, v8
.LBB72_3:
	s_or_b64 exec, exec, s[0:1]
	v_mov_b32_e32 v10, 1
	v_lshlrev_b16_sdwa v8, v10, v5 dst_sel:DWORD dst_unused:UNUSED_PAD src0_sel:DWORD src1_sel:WORD_1
	v_lshlrev_b16_e32 v11, 1, v5
	v_cmp_ne_u16_e32 vcc, v8, v7
	v_cmp_ne_u16_sdwa s[0:1], v11, v5 src0_sel:DWORD src1_sel:WORD_1
	v_lshlrev_b16_sdwa v12, v10, v4 dst_sel:DWORD dst_unused:UNUSED_PAD src0_sel:DWORD src1_sel:WORD_1
	v_lshlrev_b16_e32 v13, 1, v4
	v_cndmask_b32_e64 v8, 0, 1, vcc
	v_cndmask_b32_e64 v11, 0, 1, s[0:1]
	v_cmp_ne_u16_e32 vcc, v12, v5
	v_cmp_ne_u16_sdwa s[0:1], v13, v4 src0_sel:DWORD src1_sel:WORD_1
	v_lshlrev_b16_sdwa v14, v10, v3 dst_sel:DWORD dst_unused:UNUSED_PAD src0_sel:DWORD src1_sel:WORD_1
	v_lshlrev_b16_e32 v15, 1, v3
	v_cndmask_b32_e64 v12, 0, 1, vcc
	v_cndmask_b32_e64 v13, 0, 1, s[0:1]
	;; [unrolled: 6-line block ×3, first 2 shown]
	v_cmp_ne_u16_e32 vcc, v10, v3
	v_cmp_ne_u16_sdwa s[0:1], v16, v2 src0_sel:DWORD src1_sel:WORD_1
	s_waitcnt vmcnt(0) lgkmcnt(0)
	v_lshlrev_b16_e32 v9, 1, v9
	v_cndmask_b32_e64 v10, 0, 1, vcc
	v_cndmask_b32_e64 v16, 0, 1, s[0:1]
	v_cmp_ne_u16_e32 vcc, v9, v2
	v_cndmask_b32_e64 v9, 0, 1, vcc
	v_lshlrev_b16_e32 v16, 8, v16
	v_lshlrev_b16_e32 v15, 8, v15
	v_or_b32_e32 v9, v9, v16
	v_or_b32_sdwa v10, v10, v15 dst_sel:WORD_1 dst_unused:UNUSED_PAD src0_sel:DWORD src1_sel:DWORD
	v_or_b32_sdwa v10, v9, v10 dst_sel:DWORD dst_unused:UNUSED_PAD src0_sel:WORD_0 src1_sel:DWORD
	v_lshlrev_b16_e32 v9, 8, v13
	v_lshlrev_b16_e32 v11, 8, v11
	v_or_b32_e32 v9, v14, v9
	v_or_b32_sdwa v11, v12, v11 dst_sel:WORD_1 dst_unused:UNUSED_PAD src0_sel:DWORD src1_sel:DWORD
	v_or_b32_sdwa v9, v9, v11 dst_sel:DWORD dst_unused:UNUSED_PAD src0_sel:WORD_0 src1_sel:DWORD
	s_branch .LBB72_8
.LBB72_4:
                                        ; implicit-def: $vgpr8
                                        ; implicit-def: $vgpr9
                                        ; implicit-def: $vgpr10
	s_cbranch_execz .LBB72_8
; %bb.5:
	v_mov_b32_e32 v8, 1
	s_waitcnt vmcnt(1)
	v_lshlrev_b16_sdwa v9, v8, v5 dst_sel:DWORD dst_unused:UNUSED_PAD src0_sel:DWORD src1_sel:WORD_1
	s_waitcnt vmcnt(0)
	ds_write_b16 v6, v7
	v_cmp_ne_u16_e32 vcc, v9, v7
	v_lshlrev_b16_e32 v7, 1, v5
	v_cmp_ne_u16_sdwa s[0:1], v7, v5 src0_sel:DWORD src1_sel:WORD_1
	v_lshlrev_b16_sdwa v9, v8, v4 dst_sel:DWORD dst_unused:UNUSED_PAD src0_sel:DWORD src1_sel:WORD_1
	v_cndmask_b32_e64 v7, 0, 1, s[0:1]
	v_cmp_ne_u16_e64 s[0:1], v9, v5
	v_lshlrev_b16_e32 v9, 1, v4
	v_cndmask_b32_e64 v5, 0, 1, s[0:1]
	v_cmp_ne_u16_sdwa s[0:1], v9, v4 src0_sel:DWORD src1_sel:WORD_1
	v_lshlrev_b16_sdwa v10, v8, v3 dst_sel:DWORD dst_unused:UNUSED_PAD src0_sel:DWORD src1_sel:WORD_1
	v_cndmask_b32_e64 v9, 0, 1, s[0:1]
	v_cmp_ne_u16_e64 s[0:1], v10, v4
	v_lshlrev_b16_e32 v10, 1, v3
	v_cndmask_b32_e64 v4, 0, 1, s[0:1]
	;; [unrolled: 6-line block ×3, first 2 shown]
	v_cmp_ne_u16_sdwa s[0:1], v8, v2 src0_sel:DWORD src1_sel:WORD_1
	v_cndmask_b32_e64 v8, 0, 1, s[0:1]
	v_cmp_ne_u16_e64 s[0:1], 0, v2
	v_cndmask_b32_e64 v11, 0, 1, s[0:1]
	v_lshlrev_b16_e32 v8, 8, v8
	v_lshlrev_b16_e32 v10, 8, v10
	v_or_b32_e32 v8, v11, v8
	v_or_b32_sdwa v3, v3, v10 dst_sel:WORD_1 dst_unused:UNUSED_PAD src0_sel:DWORD src1_sel:DWORD
	v_or_b32_sdwa v10, v8, v3 dst_sel:DWORD dst_unused:UNUSED_PAD src0_sel:WORD_0 src1_sel:DWORD
	v_lshlrev_b16_e32 v3, 8, v9
	v_or_b32_e32 v3, v4, v3
	v_lshlrev_b16_e32 v4, 8, v7
	v_or_b32_sdwa v4, v5, v4 dst_sel:WORD_1 dst_unused:UNUSED_PAD src0_sel:DWORD src1_sel:DWORD
	v_or_b32_sdwa v9, v3, v4 dst_sel:DWORD dst_unused:UNUSED_PAD src0_sel:WORD_0 src1_sel:DWORD
	v_cmp_ne_u32_e64 s[0:1], 0, v0
	s_waitcnt lgkmcnt(0)
	s_barrier
	s_and_saveexec_b64 s[6:7], s[0:1]
	s_cbranch_execz .LBB72_7
; %bb.6:
	v_add_u32_e32 v0, -2, v6
	ds_read_u16 v0, v0
	v_mov_b32_e32 v3, 8
	v_lshrrev_b32_e32 v4, 24, v10
	v_lshrrev_b32_sdwa v3, v3, v10 dst_sel:BYTE_1 dst_unused:UNUSED_PAD src0_sel:DWORD src1_sel:DWORD
	s_waitcnt lgkmcnt(0)
	v_lshlrev_b16_e32 v0, 1, v0
	v_cmp_ne_u16_e64 s[0:1], v0, v2
	v_cndmask_b32_e64 v0, 0, 1, s[0:1]
	s_movk_i32 s0, 0xff
	v_or_b32_e32 v0, v0, v3
	v_lshlrev_b16_e32 v2, 8, v4
	v_and_b32_sdwa v3, v10, s0 dst_sel:DWORD dst_unused:UNUSED_PAD src0_sel:WORD_1 src1_sel:DWORD
	v_or_b32_sdwa v2, v3, v2 dst_sel:WORD_1 dst_unused:UNUSED_PAD src0_sel:DWORD src1_sel:DWORD
	v_or_b32_sdwa v10, v0, v2 dst_sel:DWORD dst_unused:UNUSED_PAD src0_sel:WORD_0 src1_sel:DWORD
.LBB72_7:
	s_or_b64 exec, exec, s[6:7]
	v_cndmask_b32_e64 v8, 0, 1, vcc
.LBB72_8:
	s_lshl_b64 s[0:1], s[4:5], 2
	s_add_u32 s0, s2, s0
	s_waitcnt vmcnt(1)
	v_lshrrev_b32_e32 v3, 24, v10
	s_addc_u32 s1, s3, s1
	v_lshlrev_b32_e32 v6, 2, v1
	v_and_b32_e32 v0, 0xff, v10
	v_lshrrev_b16_e32 v1, 8, v10
	v_bfe_u32 v2, v10, 16, 8
	v_lshrrev_b32_e32 v5, 24, v9
	global_store_dwordx4 v6, v[0:3], s[0:1]
	v_bfe_u32 v4, v9, 16, 8
	v_and_b32_e32 v2, 0xff, v9
	v_lshrrev_b16_e32 v3, 8, v9
	v_and_b32_e32 v0, 0xff, v8
	global_store_dwordx4 v6, v[2:5], s[0:1] offset:16
	global_store_dword v6, v0, s[0:1] offset:32
	s_endpgm
	.section	.rodata,"a",@progbits
	.p2align	6, 0x0
	.amdhsa_kernel _Z20subtract_left_kernelIsbi10custom_op2Lj234ELj9EEvPKT_PT1_
		.amdhsa_group_segment_fixed_size 936
		.amdhsa_private_segment_fixed_size 0
		.amdhsa_kernarg_size 16
		.amdhsa_user_sgpr_count 6
		.amdhsa_user_sgpr_private_segment_buffer 1
		.amdhsa_user_sgpr_dispatch_ptr 0
		.amdhsa_user_sgpr_queue_ptr 0
		.amdhsa_user_sgpr_kernarg_segment_ptr 1
		.amdhsa_user_sgpr_dispatch_id 0
		.amdhsa_user_sgpr_flat_scratch_init 0
		.amdhsa_user_sgpr_kernarg_preload_length 0
		.amdhsa_user_sgpr_kernarg_preload_offset 0
		.amdhsa_user_sgpr_private_segment_size 0
		.amdhsa_uses_dynamic_stack 0
		.amdhsa_system_sgpr_private_segment_wavefront_offset 0
		.amdhsa_system_sgpr_workgroup_id_x 1
		.amdhsa_system_sgpr_workgroup_id_y 0
		.amdhsa_system_sgpr_workgroup_id_z 0
		.amdhsa_system_sgpr_workgroup_info 0
		.amdhsa_system_vgpr_workitem_id 0
		.amdhsa_next_free_vgpr 17
		.amdhsa_next_free_sgpr 10
		.amdhsa_accum_offset 20
		.amdhsa_reserve_vcc 1
		.amdhsa_reserve_flat_scratch 0
		.amdhsa_float_round_mode_32 0
		.amdhsa_float_round_mode_16_64 0
		.amdhsa_float_denorm_mode_32 3
		.amdhsa_float_denorm_mode_16_64 3
		.amdhsa_dx10_clamp 1
		.amdhsa_ieee_mode 1
		.amdhsa_fp16_overflow 0
		.amdhsa_tg_split 0
		.amdhsa_exception_fp_ieee_invalid_op 0
		.amdhsa_exception_fp_denorm_src 0
		.amdhsa_exception_fp_ieee_div_zero 0
		.amdhsa_exception_fp_ieee_overflow 0
		.amdhsa_exception_fp_ieee_underflow 0
		.amdhsa_exception_fp_ieee_inexact 0
		.amdhsa_exception_int_div_zero 0
	.end_amdhsa_kernel
	.section	.text._Z20subtract_left_kernelIsbi10custom_op2Lj234ELj9EEvPKT_PT1_,"axG",@progbits,_Z20subtract_left_kernelIsbi10custom_op2Lj234ELj9EEvPKT_PT1_,comdat
.Lfunc_end72:
	.size	_Z20subtract_left_kernelIsbi10custom_op2Lj234ELj9EEvPKT_PT1_, .Lfunc_end72-_Z20subtract_left_kernelIsbi10custom_op2Lj234ELj9EEvPKT_PT1_
                                        ; -- End function
	.section	.AMDGPU.csdata,"",@progbits
; Kernel info:
; codeLenInByte = 888
; NumSgprs: 14
; NumVgprs: 17
; NumAgprs: 0
; TotalNumVgprs: 17
; ScratchSize: 0
; MemoryBound: 0
; FloatMode: 240
; IeeeMode: 1
; LDSByteSize: 936 bytes/workgroup (compile time only)
; SGPRBlocks: 1
; VGPRBlocks: 2
; NumSGPRsForWavesPerEU: 14
; NumVGPRsForWavesPerEU: 17
; AccumOffset: 20
; Occupancy: 8
; WaveLimiterHint : 0
; COMPUTE_PGM_RSRC2:SCRATCH_EN: 0
; COMPUTE_PGM_RSRC2:USER_SGPR: 6
; COMPUTE_PGM_RSRC2:TRAP_HANDLER: 0
; COMPUTE_PGM_RSRC2:TGID_X_EN: 1
; COMPUTE_PGM_RSRC2:TGID_Y_EN: 0
; COMPUTE_PGM_RSRC2:TGID_Z_EN: 0
; COMPUTE_PGM_RSRC2:TIDIG_COMP_CNT: 0
; COMPUTE_PGM_RSRC3_GFX90A:ACCUM_OFFSET: 4
; COMPUTE_PGM_RSRC3_GFX90A:TG_SPLIT: 0
	.section	.text._Z20subtract_left_kernelItii10custom_op1Lj100ELj3EEvPKT_PT1_,"axG",@progbits,_Z20subtract_left_kernelItii10custom_op1Lj100ELj3EEvPKT_PT1_,comdat
	.protected	_Z20subtract_left_kernelItii10custom_op1Lj100ELj3EEvPKT_PT1_ ; -- Begin function _Z20subtract_left_kernelItii10custom_op1Lj100ELj3EEvPKT_PT1_
	.globl	_Z20subtract_left_kernelItii10custom_op1Lj100ELj3EEvPKT_PT1_
	.p2align	8
	.type	_Z20subtract_left_kernelItii10custom_op1Lj100ELj3EEvPKT_PT1_,@function
_Z20subtract_left_kernelItii10custom_op1Lj100ELj3EEvPKT_PT1_: ; @_Z20subtract_left_kernelItii10custom_op1Lj100ELj3EEvPKT_PT1_
; %bb.0:
	s_load_dwordx4 s[8:11], s[4:5], 0x0
	s_mul_i32 s2, s6, 0x12c
	s_mov_b32 s3, 0
	s_lshl_b64 s[0:1], s[2:3], 1
	v_mul_u32_u24_e32 v1, 3, v0
	s_waitcnt lgkmcnt(0)
	s_add_u32 s0, s8, s0
	s_addc_u32 s1, s9, s1
	v_lshlrev_b32_e32 v2, 1, v1
	global_load_dword v3, v2, s[0:1]
	global_load_ushort v7, v2, s[0:1] offset:4
	v_cmp_ne_u32_e64 s[0:1], 0, v0
	s_bitcmp0_b32 s6, 0
	v_lshlrev_b32_e32 v0, 1, v0
	s_waitcnt vmcnt(1)
	v_and_b32_e32 v2, 0xffff, v3
	s_cbranch_scc1 .LBB73_4
; %bb.1:
	s_add_i32 s4, s2, -1
	s_mov_b32 s5, s3
	s_lshl_b64 s[4:5], s[4:5], 1
	s_add_u32 s4, s8, s4
	s_addc_u32 s5, s9, s5
	v_mov_b32_e32 v4, 0
	global_load_ushort v4, v4, s[4:5]
	s_waitcnt vmcnt(1)
	ds_write_b16 v0, v7
	s_waitcnt lgkmcnt(0)
	s_barrier
	s_and_saveexec_b64 s[4:5], s[0:1]
	s_cbranch_execz .LBB73_3
; %bb.2:
	s_waitcnt vmcnt(0)
	v_add_u32_e32 v4, -2, v0
	ds_read_u16 v4, v4
.LBB73_3:
	s_or_b64 exec, exec, s[4:5]
	v_sub_u16_sdwa v8, v7, v3 dst_sel:DWORD dst_unused:UNUSED_PAD src0_sel:DWORD src1_sel:WORD_1
	v_sub_u16_sdwa v5, v3, v2 dst_sel:DWORD dst_unused:UNUSED_PAD src0_sel:WORD_1 src1_sel:DWORD
	s_waitcnt vmcnt(0) lgkmcnt(0)
	v_sub_u16_e32 v4, v2, v4
	s_branch .LBB73_8
.LBB73_4:
                                        ; implicit-def: $vgpr8
                                        ; implicit-def: $vgpr4_vgpr5_vgpr6
	s_cbranch_execz .LBB73_8
; %bb.5:
	s_waitcnt vmcnt(0)
	v_sub_u16_sdwa v8, v7, v3 dst_sel:DWORD dst_unused:UNUSED_PAD src0_sel:DWORD src1_sel:WORD_1
	v_sub_u16_sdwa v3, v3, v2 dst_sel:DWORD dst_unused:UNUSED_PAD src0_sel:WORD_1 src1_sel:DWORD
	ds_write_b16 v0, v7
	s_waitcnt lgkmcnt(0)
	s_barrier
	s_and_saveexec_b64 s[4:5], s[0:1]
	s_cbranch_execz .LBB73_7
; %bb.6:
	v_add_u32_e32 v0, -2, v0
	ds_read_u16 v0, v0
	s_waitcnt lgkmcnt(0)
	v_sub_u16_e32 v2, v2, v0
.LBB73_7:
	s_or_b64 exec, exec, s[4:5]
	v_mov_b32_e32 v6, v4
	v_mov_b32_e32 v5, v3
	;; [unrolled: 1-line block ×3, first 2 shown]
.LBB73_8:
	s_lshl_b64 s[0:1], s[2:3], 2
	s_add_u32 s0, s10, s0
	s_addc_u32 s1, s11, s1
	v_lshlrev_b32_e32 v0, 2, v1
	v_mov_b32_e32 v6, v8
	global_store_dwordx3 v0, v[4:6], s[0:1]
	s_endpgm
	.section	.rodata,"a",@progbits
	.p2align	6, 0x0
	.amdhsa_kernel _Z20subtract_left_kernelItii10custom_op1Lj100ELj3EEvPKT_PT1_
		.amdhsa_group_segment_fixed_size 400
		.amdhsa_private_segment_fixed_size 0
		.amdhsa_kernarg_size 16
		.amdhsa_user_sgpr_count 6
		.amdhsa_user_sgpr_private_segment_buffer 1
		.amdhsa_user_sgpr_dispatch_ptr 0
		.amdhsa_user_sgpr_queue_ptr 0
		.amdhsa_user_sgpr_kernarg_segment_ptr 1
		.amdhsa_user_sgpr_dispatch_id 0
		.amdhsa_user_sgpr_flat_scratch_init 0
		.amdhsa_user_sgpr_kernarg_preload_length 0
		.amdhsa_user_sgpr_kernarg_preload_offset 0
		.amdhsa_user_sgpr_private_segment_size 0
		.amdhsa_uses_dynamic_stack 0
		.amdhsa_system_sgpr_private_segment_wavefront_offset 0
		.amdhsa_system_sgpr_workgroup_id_x 1
		.amdhsa_system_sgpr_workgroup_id_y 0
		.amdhsa_system_sgpr_workgroup_id_z 0
		.amdhsa_system_sgpr_workgroup_info 0
		.amdhsa_system_vgpr_workitem_id 0
		.amdhsa_next_free_vgpr 9
		.amdhsa_next_free_sgpr 12
		.amdhsa_accum_offset 12
		.amdhsa_reserve_vcc 0
		.amdhsa_reserve_flat_scratch 0
		.amdhsa_float_round_mode_32 0
		.amdhsa_float_round_mode_16_64 0
		.amdhsa_float_denorm_mode_32 3
		.amdhsa_float_denorm_mode_16_64 3
		.amdhsa_dx10_clamp 1
		.amdhsa_ieee_mode 1
		.amdhsa_fp16_overflow 0
		.amdhsa_tg_split 0
		.amdhsa_exception_fp_ieee_invalid_op 0
		.amdhsa_exception_fp_denorm_src 0
		.amdhsa_exception_fp_ieee_div_zero 0
		.amdhsa_exception_fp_ieee_overflow 0
		.amdhsa_exception_fp_ieee_underflow 0
		.amdhsa_exception_fp_ieee_inexact 0
		.amdhsa_exception_int_div_zero 0
	.end_amdhsa_kernel
	.section	.text._Z20subtract_left_kernelItii10custom_op1Lj100ELj3EEvPKT_PT1_,"axG",@progbits,_Z20subtract_left_kernelItii10custom_op1Lj100ELj3EEvPKT_PT1_,comdat
.Lfunc_end73:
	.size	_Z20subtract_left_kernelItii10custom_op1Lj100ELj3EEvPKT_PT1_, .Lfunc_end73-_Z20subtract_left_kernelItii10custom_op1Lj100ELj3EEvPKT_PT1_
                                        ; -- End function
	.section	.AMDGPU.csdata,"",@progbits
; Kernel info:
; codeLenInByte = 316
; NumSgprs: 16
; NumVgprs: 9
; NumAgprs: 0
; TotalNumVgprs: 9
; ScratchSize: 0
; MemoryBound: 0
; FloatMode: 240
; IeeeMode: 1
; LDSByteSize: 400 bytes/workgroup (compile time only)
; SGPRBlocks: 1
; VGPRBlocks: 1
; NumSGPRsForWavesPerEU: 16
; NumVGPRsForWavesPerEU: 9
; AccumOffset: 12
; Occupancy: 8
; WaveLimiterHint : 0
; COMPUTE_PGM_RSRC2:SCRATCH_EN: 0
; COMPUTE_PGM_RSRC2:USER_SGPR: 6
; COMPUTE_PGM_RSRC2:TRAP_HANDLER: 0
; COMPUTE_PGM_RSRC2:TGID_X_EN: 1
; COMPUTE_PGM_RSRC2:TGID_Y_EN: 0
; COMPUTE_PGM_RSRC2:TGID_Z_EN: 0
; COMPUTE_PGM_RSRC2:TIDIG_COMP_CNT: 0
; COMPUTE_PGM_RSRC3_GFX90A:ACCUM_OFFSET: 2
; COMPUTE_PGM_RSRC3_GFX90A:TG_SPLIT: 0
	.section	.text._Z20subtract_left_kernelIdjjN6hipcub3SumELj464ELj2EEvPKT_PT1_,"axG",@progbits,_Z20subtract_left_kernelIdjjN6hipcub3SumELj464ELj2EEvPKT_PT1_,comdat
	.protected	_Z20subtract_left_kernelIdjjN6hipcub3SumELj464ELj2EEvPKT_PT1_ ; -- Begin function _Z20subtract_left_kernelIdjjN6hipcub3SumELj464ELj2EEvPKT_PT1_
	.globl	_Z20subtract_left_kernelIdjjN6hipcub3SumELj464ELj2EEvPKT_PT1_
	.p2align	8
	.type	_Z20subtract_left_kernelIdjjN6hipcub3SumELj464ELj2EEvPKT_PT1_,@function
_Z20subtract_left_kernelIdjjN6hipcub3SumELj464ELj2EEvPKT_PT1_: ; @_Z20subtract_left_kernelIdjjN6hipcub3SumELj464ELj2EEvPKT_PT1_
; %bb.0:
	s_load_dwordx4 s[0:3], s[4:5], 0x0
	s_mul_i32 s4, s6, 0x3a0
	s_mov_b32 s5, 0
	s_lshl_b64 s[8:9], s[4:5], 3
	v_lshlrev_b32_e32 v1, 4, v0
	s_waitcnt lgkmcnt(0)
	s_add_u32 s8, s0, s8
	s_addc_u32 s9, s1, s9
	global_load_dwordx4 v[2:5], v1, s[8:9]
	v_lshlrev_b32_e32 v1, 1, v0
	s_bitcmp0_b32 s6, 0
	v_lshlrev_b32_e32 v10, 3, v0
	v_cmp_ne_u32_e32 vcc, 0, v0
	s_cbranch_scc1 .LBB74_4
; %bb.1:
	s_add_i32 s6, s4, -1
	s_mov_b32 s7, s5
	s_lshl_b64 s[6:7], s[6:7], 3
	s_add_u32 s0, s0, s6
	s_addc_u32 s1, s1, s7
	s_load_dwordx2 s[0:1], s[0:1], 0x0
	s_waitcnt vmcnt(0)
	ds_write_b64 v10, v[4:5]
	s_waitcnt lgkmcnt(0)
	s_barrier
	v_pk_mov_b32 v[8:9], s[0:1], s[0:1] op_sel:[0,1]
	s_and_saveexec_b64 s[0:1], vcc
	s_cbranch_execz .LBB74_3
; %bb.2:
	v_add_u32_e32 v6, -8, v10
	ds_read_b64 v[8:9], v6
.LBB74_3:
	s_or_b64 exec, exec, s[0:1]
	v_add_f64 v[6:7], v[2:3], v[4:5]
	s_waitcnt lgkmcnt(0)
	v_add_f64 v[8:9], v[2:3], v[8:9]
	v_cvt_u32_f64_e32 v7, v[6:7]
	v_cvt_u32_f64_e32 v6, v[8:9]
	s_branch .LBB74_8
.LBB74_4:
                                        ; implicit-def: $vgpr6_vgpr7
	s_cbranch_execz .LBB74_8
; %bb.5:
	s_waitcnt vmcnt(0)
	ds_write_b64 v10, v[4:5]
	v_add_f64 v[4:5], v[2:3], v[4:5]
	v_cvt_u32_f64_e32 v7, v[4:5]
	v_cvt_u32_f64_e32 v6, v[2:3]
	v_cmp_ne_u32_e32 vcc, 0, v0
	s_waitcnt lgkmcnt(0)
	s_barrier
	s_and_saveexec_b64 s[0:1], vcc
	s_cbranch_execz .LBB74_7
; %bb.6:
	v_add_u32_e32 v0, -8, v10
	ds_read_b64 v[4:5], v0
	s_waitcnt lgkmcnt(0)
	v_add_f64 v[2:3], v[2:3], v[4:5]
	v_cvt_u32_f64_e32 v6, v[2:3]
.LBB74_7:
	s_or_b64 exec, exec, s[0:1]
.LBB74_8:
	s_lshl_b64 s[0:1], s[4:5], 2
	s_add_u32 s0, s2, s0
	s_addc_u32 s1, s3, s1
	v_lshlrev_b32_e32 v0, 2, v1
	global_store_dwordx2 v0, v[6:7], s[0:1]
	s_endpgm
	.section	.rodata,"a",@progbits
	.p2align	6, 0x0
	.amdhsa_kernel _Z20subtract_left_kernelIdjjN6hipcub3SumELj464ELj2EEvPKT_PT1_
		.amdhsa_group_segment_fixed_size 7424
		.amdhsa_private_segment_fixed_size 0
		.amdhsa_kernarg_size 16
		.amdhsa_user_sgpr_count 6
		.amdhsa_user_sgpr_private_segment_buffer 1
		.amdhsa_user_sgpr_dispatch_ptr 0
		.amdhsa_user_sgpr_queue_ptr 0
		.amdhsa_user_sgpr_kernarg_segment_ptr 1
		.amdhsa_user_sgpr_dispatch_id 0
		.amdhsa_user_sgpr_flat_scratch_init 0
		.amdhsa_user_sgpr_kernarg_preload_length 0
		.amdhsa_user_sgpr_kernarg_preload_offset 0
		.amdhsa_user_sgpr_private_segment_size 0
		.amdhsa_uses_dynamic_stack 0
		.amdhsa_system_sgpr_private_segment_wavefront_offset 0
		.amdhsa_system_sgpr_workgroup_id_x 1
		.amdhsa_system_sgpr_workgroup_id_y 0
		.amdhsa_system_sgpr_workgroup_id_z 0
		.amdhsa_system_sgpr_workgroup_info 0
		.amdhsa_system_vgpr_workitem_id 0
		.amdhsa_next_free_vgpr 11
		.amdhsa_next_free_sgpr 10
		.amdhsa_accum_offset 12
		.amdhsa_reserve_vcc 1
		.amdhsa_reserve_flat_scratch 0
		.amdhsa_float_round_mode_32 0
		.amdhsa_float_round_mode_16_64 0
		.amdhsa_float_denorm_mode_32 3
		.amdhsa_float_denorm_mode_16_64 3
		.amdhsa_dx10_clamp 1
		.amdhsa_ieee_mode 1
		.amdhsa_fp16_overflow 0
		.amdhsa_tg_split 0
		.amdhsa_exception_fp_ieee_invalid_op 0
		.amdhsa_exception_fp_denorm_src 0
		.amdhsa_exception_fp_ieee_div_zero 0
		.amdhsa_exception_fp_ieee_overflow 0
		.amdhsa_exception_fp_ieee_underflow 0
		.amdhsa_exception_fp_ieee_inexact 0
		.amdhsa_exception_int_div_zero 0
	.end_amdhsa_kernel
	.section	.text._Z20subtract_left_kernelIdjjN6hipcub3SumELj464ELj2EEvPKT_PT1_,"axG",@progbits,_Z20subtract_left_kernelIdjjN6hipcub3SumELj464ELj2EEvPKT_PT1_,comdat
.Lfunc_end74:
	.size	_Z20subtract_left_kernelIdjjN6hipcub3SumELj464ELj2EEvPKT_PT1_, .Lfunc_end74-_Z20subtract_left_kernelIdjjN6hipcub3SumELj464ELj2EEvPKT_PT1_
                                        ; -- End function
	.section	.AMDGPU.csdata,"",@progbits
; Kernel info:
; codeLenInByte = 292
; NumSgprs: 14
; NumVgprs: 11
; NumAgprs: 0
; TotalNumVgprs: 11
; ScratchSize: 0
; MemoryBound: 0
; FloatMode: 240
; IeeeMode: 1
; LDSByteSize: 7424 bytes/workgroup (compile time only)
; SGPRBlocks: 1
; VGPRBlocks: 1
; NumSGPRsForWavesPerEU: 14
; NumVGPRsForWavesPerEU: 11
; AccumOffset: 12
; Occupancy: 8
; WaveLimiterHint : 0
; COMPUTE_PGM_RSRC2:SCRATCH_EN: 0
; COMPUTE_PGM_RSRC2:USER_SGPR: 6
; COMPUTE_PGM_RSRC2:TRAP_HANDLER: 0
; COMPUTE_PGM_RSRC2:TGID_X_EN: 1
; COMPUTE_PGM_RSRC2:TGID_Y_EN: 0
; COMPUTE_PGM_RSRC2:TGID_Z_EN: 0
; COMPUTE_PGM_RSRC2:TIDIG_COMP_CNT: 0
; COMPUTE_PGM_RSRC3_GFX90A:ACCUM_OFFSET: 2
; COMPUTE_PGM_RSRC3_GFX90A:TG_SPLIT: 0
	.section	.text._Z20subtract_left_kernelIdii10custom_op2Lj33ELj5EEvPKT_PT1_,"axG",@progbits,_Z20subtract_left_kernelIdii10custom_op2Lj33ELj5EEvPKT_PT1_,comdat
	.protected	_Z20subtract_left_kernelIdii10custom_op2Lj33ELj5EEvPKT_PT1_ ; -- Begin function _Z20subtract_left_kernelIdii10custom_op2Lj33ELj5EEvPKT_PT1_
	.globl	_Z20subtract_left_kernelIdii10custom_op2Lj33ELj5EEvPKT_PT1_
	.p2align	8
	.type	_Z20subtract_left_kernelIdii10custom_op2Lj33ELj5EEvPKT_PT1_,@function
_Z20subtract_left_kernelIdii10custom_op2Lj33ELj5EEvPKT_PT1_: ; @_Z20subtract_left_kernelIdii10custom_op2Lj33ELj5EEvPKT_PT1_
; %bb.0:
	s_load_dwordx4 s[0:3], s[4:5], 0x0
	s_mul_i32 s4, s6, 0xa5
	s_mov_b32 s5, 0
	s_lshl_b64 s[8:9], s[4:5], 3
	v_mul_u32_u24_e32 v1, 5, v0
	s_waitcnt lgkmcnt(0)
	s_add_u32 s8, s0, s8
	s_addc_u32 s9, s1, s9
	v_lshlrev_b32_e32 v10, 3, v1
	global_load_dwordx2 v[14:15], v10, s[8:9] offset:32
	global_load_dwordx4 v[6:9], v10, s[8:9] offset:16
	global_load_dwordx4 v[2:5], v10, s[8:9]
	s_bitcmp0_b32 s6, 0
	v_lshlrev_b32_e32 v18, 3, v0
	v_cmp_ne_u32_e32 vcc, 0, v0
	s_cbranch_scc1 .LBB75_4
; %bb.1:
	s_add_i32 s6, s4, -1
	s_mov_b32 s7, s5
	s_lshl_b64 s[6:7], s[6:7], 3
	s_add_u32 s0, s0, s6
	s_addc_u32 s1, s1, s7
	s_load_dwordx2 s[0:1], s[0:1], 0x0
	s_waitcnt vmcnt(2)
	ds_write_b64 v18, v[14:15]
	s_waitcnt lgkmcnt(0)
	; wave barrier
	s_waitcnt lgkmcnt(0)
	v_pk_mov_b32 v[16:17], s[0:1], s[0:1] op_sel:[0,1]
	s_and_saveexec_b64 s[0:1], vcc
	s_cbranch_execz .LBB75_3
; %bb.2:
	v_add_u32_e32 v10, -8, v18
	ds_read_b64 v[16:17], v10
.LBB75_3:
	s_or_b64 exec, exec, s[0:1]
	s_waitcnt vmcnt(1)
	v_fma_f64 v[10:11], v[8:9], 2.0, -v[14:15]
	v_cvt_i32_f64_e32 v19, v[10:11]
	v_fma_f64 v[10:11], v[6:7], 2.0, -v[8:9]
	v_cvt_i32_f64_e32 v13, v[10:11]
	s_waitcnt vmcnt(0)
	v_fma_f64 v[10:11], v[4:5], 2.0, -v[6:7]
	v_cvt_i32_f64_e32 v12, v[10:11]
	v_fma_f64 v[10:11], v[2:3], 2.0, -v[4:5]
	s_waitcnt lgkmcnt(0)
	v_fma_f64 v[16:17], v[16:17], 2.0, -v[2:3]
	v_cvt_i32_f64_e32 v11, v[10:11]
	v_cvt_i32_f64_e32 v10, v[16:17]
	s_branch .LBB75_8
.LBB75_4:
                                        ; implicit-def: $vgpr19
                                        ; implicit-def: $vgpr13
	s_cbranch_execz .LBB75_8
; %bb.5:
	s_waitcnt vmcnt(1)
	v_fma_f64 v[10:11], v[6:7], 2.0, -v[8:9]
	v_fma_f64 v[8:9], v[8:9], 2.0, -v[14:15]
	v_cvt_i32_f64_e32 v19, v[8:9]
	s_waitcnt vmcnt(0)
	v_fma_f64 v[8:9], v[2:3], 2.0, -v[4:5]
	v_fma_f64 v[4:5], v[4:5], 2.0, -v[6:7]
	v_cvt_i32_f64_e32 v13, v[10:11]
	v_cvt_i32_f64_e32 v12, v[4:5]
	;; [unrolled: 1-line block ×4, first 2 shown]
	v_cmp_ne_u32_e32 vcc, 0, v0
	ds_write_b64 v18, v[14:15]
	s_waitcnt lgkmcnt(0)
	; wave barrier
	s_waitcnt lgkmcnt(0)
	s_and_saveexec_b64 s[0:1], vcc
	s_cbranch_execz .LBB75_7
; %bb.6:
	v_add_u32_e32 v0, -8, v18
	ds_read_b64 v[4:5], v0
	s_waitcnt lgkmcnt(0)
	v_fma_f64 v[2:3], v[4:5], 2.0, -v[2:3]
	v_cvt_i32_f64_e32 v10, v[2:3]
.LBB75_7:
	s_or_b64 exec, exec, s[0:1]
.LBB75_8:
	s_lshl_b64 s[0:1], s[4:5], 2
	s_add_u32 s0, s2, s0
	s_addc_u32 s1, s3, s1
	v_lshlrev_b32_e32 v0, 2, v1
	global_store_dwordx4 v0, v[10:13], s[0:1]
	global_store_dword v0, v19, s[0:1] offset:16
	s_endpgm
	.section	.rodata,"a",@progbits
	.p2align	6, 0x0
	.amdhsa_kernel _Z20subtract_left_kernelIdii10custom_op2Lj33ELj5EEvPKT_PT1_
		.amdhsa_group_segment_fixed_size 528
		.amdhsa_private_segment_fixed_size 0
		.amdhsa_kernarg_size 16
		.amdhsa_user_sgpr_count 6
		.amdhsa_user_sgpr_private_segment_buffer 1
		.amdhsa_user_sgpr_dispatch_ptr 0
		.amdhsa_user_sgpr_queue_ptr 0
		.amdhsa_user_sgpr_kernarg_segment_ptr 1
		.amdhsa_user_sgpr_dispatch_id 0
		.amdhsa_user_sgpr_flat_scratch_init 0
		.amdhsa_user_sgpr_kernarg_preload_length 0
		.amdhsa_user_sgpr_kernarg_preload_offset 0
		.amdhsa_user_sgpr_private_segment_size 0
		.amdhsa_uses_dynamic_stack 0
		.amdhsa_system_sgpr_private_segment_wavefront_offset 0
		.amdhsa_system_sgpr_workgroup_id_x 1
		.amdhsa_system_sgpr_workgroup_id_y 0
		.amdhsa_system_sgpr_workgroup_id_z 0
		.amdhsa_system_sgpr_workgroup_info 0
		.amdhsa_system_vgpr_workitem_id 0
		.amdhsa_next_free_vgpr 20
		.amdhsa_next_free_sgpr 10
		.amdhsa_accum_offset 20
		.amdhsa_reserve_vcc 1
		.amdhsa_reserve_flat_scratch 0
		.amdhsa_float_round_mode_32 0
		.amdhsa_float_round_mode_16_64 0
		.amdhsa_float_denorm_mode_32 3
		.amdhsa_float_denorm_mode_16_64 3
		.amdhsa_dx10_clamp 1
		.amdhsa_ieee_mode 1
		.amdhsa_fp16_overflow 0
		.amdhsa_tg_split 0
		.amdhsa_exception_fp_ieee_invalid_op 0
		.amdhsa_exception_fp_denorm_src 0
		.amdhsa_exception_fp_ieee_div_zero 0
		.amdhsa_exception_fp_ieee_overflow 0
		.amdhsa_exception_fp_ieee_underflow 0
		.amdhsa_exception_fp_ieee_inexact 0
		.amdhsa_exception_int_div_zero 0
	.end_amdhsa_kernel
	.section	.text._Z20subtract_left_kernelIdii10custom_op2Lj33ELj5EEvPKT_PT1_,"axG",@progbits,_Z20subtract_left_kernelIdii10custom_op2Lj33ELj5EEvPKT_PT1_,comdat
.Lfunc_end75:
	.size	_Z20subtract_left_kernelIdii10custom_op2Lj33ELj5EEvPKT_PT1_, .Lfunc_end75-_Z20subtract_left_kernelIdii10custom_op2Lj33ELj5EEvPKT_PT1_
                                        ; -- End function
	.section	.AMDGPU.csdata,"",@progbits
; Kernel info:
; codeLenInByte = 400
; NumSgprs: 14
; NumVgprs: 20
; NumAgprs: 0
; TotalNumVgprs: 20
; ScratchSize: 0
; MemoryBound: 0
; FloatMode: 240
; IeeeMode: 1
; LDSByteSize: 528 bytes/workgroup (compile time only)
; SGPRBlocks: 1
; VGPRBlocks: 2
; NumSGPRsForWavesPerEU: 14
; NumVGPRsForWavesPerEU: 20
; AccumOffset: 20
; Occupancy: 8
; WaveLimiterHint : 0
; COMPUTE_PGM_RSRC2:SCRATCH_EN: 0
; COMPUTE_PGM_RSRC2:USER_SGPR: 6
; COMPUTE_PGM_RSRC2:TRAP_HANDLER: 0
; COMPUTE_PGM_RSRC2:TGID_X_EN: 1
; COMPUTE_PGM_RSRC2:TGID_Y_EN: 0
; COMPUTE_PGM_RSRC2:TGID_Z_EN: 0
; COMPUTE_PGM_RSRC2:TIDIG_COMP_CNT: 0
; COMPUTE_PGM_RSRC3_GFX90A:ACCUM_OFFSET: 4
; COMPUTE_PGM_RSRC3_GFX90A:TG_SPLIT: 0
	.section	.text._Z20subtract_left_kernelIsss10custom_op1Lj512ELj8EEvPKT_PT1_,"axG",@progbits,_Z20subtract_left_kernelIsss10custom_op1Lj512ELj8EEvPKT_PT1_,comdat
	.protected	_Z20subtract_left_kernelIsss10custom_op1Lj512ELj8EEvPKT_PT1_ ; -- Begin function _Z20subtract_left_kernelIsss10custom_op1Lj512ELj8EEvPKT_PT1_
	.globl	_Z20subtract_left_kernelIsss10custom_op1Lj512ELj8EEvPKT_PT1_
	.p2align	8
	.type	_Z20subtract_left_kernelIsss10custom_op1Lj512ELj8EEvPKT_PT1_,@function
_Z20subtract_left_kernelIsss10custom_op1Lj512ELj8EEvPKT_PT1_: ; @_Z20subtract_left_kernelIsss10custom_op1Lj512ELj8EEvPKT_PT1_
; %bb.0:
	s_load_dwordx4 s[0:3], s[4:5], 0x0
	s_lshl_b32 s8, s6, 12
	s_mov_b32 s9, 0
	s_lshl_b64 s[4:5], s[8:9], 1
	v_lshlrev_b32_e32 v1, 4, v0
	s_waitcnt lgkmcnt(0)
	s_add_u32 s10, s0, s4
	s_addc_u32 s11, s1, s5
	global_load_dwordx4 v[2:5], v1, s[10:11]
	v_lshlrev_b32_e32 v1, 3, v0
	v_lshlrev_b32_e32 v8, 1, v0
	s_bitcmp0_b32 s6, 0
	v_cmp_ne_u32_e32 vcc, 0, v0
	s_waitcnt vmcnt(0)
	v_alignbit_b32 v9, v3, v2, 16
	v_alignbit_b32 v3, v4, v3, 16
	;; [unrolled: 1-line block ×3, first 2 shown]
	v_lshrrev_b32_e32 v11, 16, v5
	s_cbranch_scc1 .LBB76_4
; %bb.1:
	s_add_i32 s8, s8, -1
	s_lshl_b64 s[6:7], s[8:9], 1
	s_add_u32 s0, s0, s6
	s_addc_u32 s1, s1, s7
	v_mov_b32_e32 v4, 0
	global_load_ushort v4, v4, s[0:1]
	ds_write_b16 v8, v11
	s_waitcnt lgkmcnt(0)
	s_barrier
	s_and_saveexec_b64 s[0:1], vcc
	s_cbranch_execz .LBB76_3
; %bb.2:
	s_waitcnt vmcnt(0)
	v_add_u32_e32 v4, -2, v8
	ds_read_u16 v4, v4
.LBB76_3:
	s_or_b64 exec, exec, s[0:1]
	v_alignbit_b32 v5, v10, v3, 16
	v_pk_sub_i16 v12, v10, v5
	v_alignbit_b32 v5, v3, v9, 16
	s_mov_b32 s0, 0x5040100
	v_pk_sub_i16 v6, v3, v5
	v_perm_b32 v5, v9, v2, s0
	v_sub_u16_sdwa v7, v11, v10 dst_sel:DWORD dst_unused:UNUSED_PAD src0_sel:DWORD src1_sel:WORD_1
	v_pk_sub_i16 v5, v9, v5
	s_waitcnt vmcnt(0) lgkmcnt(0)
	v_sub_u16_e32 v4, v2, v4
	v_perm_b32 v4, v5, v4, s0
	v_alignbit_b32 v5, v6, v5, 16
	v_alignbit_b32 v6, v12, v6, 16
	;; [unrolled: 1-line block ×3, first 2 shown]
	s_branch .LBB76_8
.LBB76_4:
                                        ; implicit-def: $vgpr7
	s_cbranch_execz .LBB76_8
; %bb.5:
	v_alignbit_b32 v4, v10, v3, 16
	v_sub_u16_sdwa v7, v11, v10 dst_sel:DWORD dst_unused:UNUSED_PAD src0_sel:DWORD src1_sel:WORD_1
	v_pk_sub_i16 v10, v10, v4
	v_alignbit_b32 v4, v3, v9, 16
	s_mov_b32 s0, 0x5040100
	v_pk_sub_i16 v3, v3, v4
	v_perm_b32 v4, v9, v2, s0
	v_pk_sub_i16 v5, v9, v4
	v_perm_b32 v4, v5, v2, s0
	v_alignbit_b32 v5, v3, v5, 16
	v_alignbit_b32 v6, v10, v3, 16
	;; [unrolled: 1-line block ×3, first 2 shown]
	v_cmp_ne_u32_e32 vcc, 0, v0
	ds_write_b16 v8, v11
	s_waitcnt lgkmcnt(0)
	s_barrier
	s_and_saveexec_b64 s[0:1], vcc
	s_cbranch_execz .LBB76_7
; %bb.6:
	v_add_u32_e32 v0, -2, v8
	ds_read_u16 v0, v0
	s_mov_b32 s6, 0xffff
	s_waitcnt lgkmcnt(0)
	v_sub_u16_e32 v0, v2, v0
	v_bfi_b32 v4, s6, v0, v4
.LBB76_7:
	s_or_b64 exec, exec, s[0:1]
.LBB76_8:
	s_add_u32 s0, s2, s4
	s_addc_u32 s1, s3, s5
	v_lshlrev_b32_e32 v0, 1, v1
	global_store_dwordx4 v0, v[4:7], s[0:1]
	s_endpgm
	.section	.rodata,"a",@progbits
	.p2align	6, 0x0
	.amdhsa_kernel _Z20subtract_left_kernelIsss10custom_op1Lj512ELj8EEvPKT_PT1_
		.amdhsa_group_segment_fixed_size 2048
		.amdhsa_private_segment_fixed_size 0
		.amdhsa_kernarg_size 16
		.amdhsa_user_sgpr_count 6
		.amdhsa_user_sgpr_private_segment_buffer 1
		.amdhsa_user_sgpr_dispatch_ptr 0
		.amdhsa_user_sgpr_queue_ptr 0
		.amdhsa_user_sgpr_kernarg_segment_ptr 1
		.amdhsa_user_sgpr_dispatch_id 0
		.amdhsa_user_sgpr_flat_scratch_init 0
		.amdhsa_user_sgpr_kernarg_preload_length 0
		.amdhsa_user_sgpr_kernarg_preload_offset 0
		.amdhsa_user_sgpr_private_segment_size 0
		.amdhsa_uses_dynamic_stack 0
		.amdhsa_system_sgpr_private_segment_wavefront_offset 0
		.amdhsa_system_sgpr_workgroup_id_x 1
		.amdhsa_system_sgpr_workgroup_id_y 0
		.amdhsa_system_sgpr_workgroup_id_z 0
		.amdhsa_system_sgpr_workgroup_info 0
		.amdhsa_system_vgpr_workitem_id 0
		.amdhsa_next_free_vgpr 13
		.amdhsa_next_free_sgpr 12
		.amdhsa_accum_offset 16
		.amdhsa_reserve_vcc 1
		.amdhsa_reserve_flat_scratch 0
		.amdhsa_float_round_mode_32 0
		.amdhsa_float_round_mode_16_64 0
		.amdhsa_float_denorm_mode_32 3
		.amdhsa_float_denorm_mode_16_64 3
		.amdhsa_dx10_clamp 1
		.amdhsa_ieee_mode 1
		.amdhsa_fp16_overflow 0
		.amdhsa_tg_split 0
		.amdhsa_exception_fp_ieee_invalid_op 0
		.amdhsa_exception_fp_denorm_src 0
		.amdhsa_exception_fp_ieee_div_zero 0
		.amdhsa_exception_fp_ieee_overflow 0
		.amdhsa_exception_fp_ieee_underflow 0
		.amdhsa_exception_fp_ieee_inexact 0
		.amdhsa_exception_int_div_zero 0
	.end_amdhsa_kernel
	.section	.text._Z20subtract_left_kernelIsss10custom_op1Lj512ELj8EEvPKT_PT1_,"axG",@progbits,_Z20subtract_left_kernelIsss10custom_op1Lj512ELj8EEvPKT_PT1_,comdat
.Lfunc_end76:
	.size	_Z20subtract_left_kernelIsss10custom_op1Lj512ELj8EEvPKT_PT1_, .Lfunc_end76-_Z20subtract_left_kernelIsss10custom_op1Lj512ELj8EEvPKT_PT1_
                                        ; -- End function
	.section	.AMDGPU.csdata,"",@progbits
; Kernel info:
; codeLenInByte = 468
; NumSgprs: 16
; NumVgprs: 13
; NumAgprs: 0
; TotalNumVgprs: 13
; ScratchSize: 0
; MemoryBound: 0
; FloatMode: 240
; IeeeMode: 1
; LDSByteSize: 2048 bytes/workgroup (compile time only)
; SGPRBlocks: 1
; VGPRBlocks: 1
; NumSGPRsForWavesPerEU: 16
; NumVGPRsForWavesPerEU: 13
; AccumOffset: 16
; Occupancy: 8
; WaveLimiterHint : 0
; COMPUTE_PGM_RSRC2:SCRATCH_EN: 0
; COMPUTE_PGM_RSRC2:USER_SGPR: 6
; COMPUTE_PGM_RSRC2:TRAP_HANDLER: 0
; COMPUTE_PGM_RSRC2:TGID_X_EN: 1
; COMPUTE_PGM_RSRC2:TGID_Y_EN: 0
; COMPUTE_PGM_RSRC2:TGID_Z_EN: 0
; COMPUTE_PGM_RSRC2:TIDIG_COMP_CNT: 0
; COMPUTE_PGM_RSRC3_GFX90A:ACCUM_OFFSET: 3
; COMPUTE_PGM_RSRC3_GFX90A:TG_SPLIT: 0
	.section	.text._Z20subtract_left_kernelIthhN6hipcub3SumELj256ELj7EEvPKT_PT1_,"axG",@progbits,_Z20subtract_left_kernelIthhN6hipcub3SumELj256ELj7EEvPKT_PT1_,comdat
	.protected	_Z20subtract_left_kernelIthhN6hipcub3SumELj256ELj7EEvPKT_PT1_ ; -- Begin function _Z20subtract_left_kernelIthhN6hipcub3SumELj256ELj7EEvPKT_PT1_
	.globl	_Z20subtract_left_kernelIthhN6hipcub3SumELj256ELj7EEvPKT_PT1_
	.p2align	8
	.type	_Z20subtract_left_kernelIthhN6hipcub3SumELj256ELj7EEvPKT_PT1_,@function
_Z20subtract_left_kernelIthhN6hipcub3SumELj256ELj7EEvPKT_PT1_: ; @_Z20subtract_left_kernelIthhN6hipcub3SumELj256ELj7EEvPKT_PT1_
; %bb.0:
	s_load_dwordx4 s[0:3], s[4:5], 0x0
	s_mul_i32 s4, s6, 0x700
	s_mov_b32 s5, 0
	s_lshl_b64 s[8:9], s[4:5], 1
	v_mul_u32_u24_e32 v1, 7, v0
	s_waitcnt lgkmcnt(0)
	s_add_u32 s8, s0, s8
	s_addc_u32 s9, s1, s9
	v_lshlrev_b32_e32 v5, 1, v1
	global_load_ushort v8, v5, s[8:9] offset:12
	global_load_dwordx3 v[2:4], v5, s[8:9]
	s_bitcmp0_b32 s6, 0
	v_lshlrev_b32_e32 v5, 1, v0
	v_cmp_ne_u32_e32 vcc, 0, v0
	s_cbranch_scc1 .LBB77_4
; %bb.1:
	s_add_i32 s6, s4, -1
	s_mov_b32 s7, s5
	s_lshl_b64 s[6:7], s[6:7], 1
	s_add_u32 s0, s0, s6
	s_addc_u32 s1, s1, s7
	v_mov_b32_e32 v6, 0
	global_load_ushort v10, v6, s[0:1]
	s_waitcnt vmcnt(2)
	ds_write_b16 v5, v8
	s_waitcnt lgkmcnt(0)
	s_barrier
	s_and_saveexec_b64 s[0:1], vcc
	s_cbranch_execz .LBB77_3
; %bb.2:
	v_add_u32_e32 v6, -2, v5
	s_waitcnt vmcnt(0)
	ds_read_u16 v10, v6
.LBB77_3:
	s_or_b64 exec, exec, s[0:1]
	s_waitcnt vmcnt(1)
	v_add_u16_sdwa v11, v3, v3 dst_sel:DWORD dst_unused:UNUSED_PAD src0_sel:WORD_1 src1_sel:DWORD
	v_add_u16_sdwa v13, v2, v2 dst_sel:DWORD dst_unused:UNUSED_PAD src0_sel:WORD_1 src1_sel:DWORD
	v_add_u16_sdwa v12, v3, v2 dst_sel:DWORD dst_unused:UNUSED_PAD src0_sel:DWORD src1_sel:WORD_1
	s_waitcnt vmcnt(0) lgkmcnt(0)
	v_add_u16_e32 v10, v10, v2
	v_lshlrev_b16_e32 v13, 8, v13
	v_lshlrev_b16_e32 v11, 8, v11
	v_or_b32_sdwa v10, v10, v13 dst_sel:DWORD dst_unused:UNUSED_PAD src0_sel:BYTE_0 src1_sel:DWORD
	v_or_b32_sdwa v11, v12, v11 dst_sel:WORD_1 dst_unused:UNUSED_PAD src0_sel:BYTE_0 src1_sel:DWORD
	v_add_u16_sdwa v6, v8, v4 dst_sel:DWORD dst_unused:UNUSED_PAD src0_sel:DWORD src1_sel:WORD_1
	v_add_u16_sdwa v7, v4, v4 dst_sel:DWORD dst_unused:UNUSED_PAD src0_sel:WORD_1 src1_sel:DWORD
	v_add_u16_sdwa v9, v4, v3 dst_sel:DWORD dst_unused:UNUSED_PAD src0_sel:DWORD src1_sel:WORD_1
	v_or_b32_sdwa v10, v10, v11 dst_sel:DWORD dst_unused:UNUSED_PAD src0_sel:WORD_0 src1_sel:DWORD
	s_branch .LBB77_8
.LBB77_4:
                                        ; implicit-def: $vgpr6
                                        ; implicit-def: $vgpr7
                                        ; implicit-def: $vgpr9
                                        ; implicit-def: $vgpr10
	s_cbranch_execz .LBB77_8
; %bb.5:
	s_waitcnt vmcnt(1)
	ds_write_b16 v5, v8
	s_waitcnt vmcnt(0)
	v_add_u16_sdwa v6, v8, v4 dst_sel:DWORD dst_unused:UNUSED_PAD src0_sel:DWORD src1_sel:WORD_1
	v_add_u16_sdwa v7, v4, v4 dst_sel:DWORD dst_unused:UNUSED_PAD src0_sel:WORD_1 src1_sel:DWORD
	v_add_u16_sdwa v9, v4, v3 dst_sel:DWORD dst_unused:UNUSED_PAD src0_sel:DWORD src1_sel:WORD_1
	v_add_u16_sdwa v4, v3, v3 dst_sel:DWORD dst_unused:UNUSED_PAD src0_sel:WORD_1 src1_sel:DWORD
	v_add_u16_sdwa v8, v2, v2 dst_sel:DWORD dst_unused:UNUSED_PAD src0_sel:WORD_1 src1_sel:DWORD
	v_add_u16_sdwa v3, v3, v2 dst_sel:DWORD dst_unused:UNUSED_PAD src0_sel:DWORD src1_sel:WORD_1
	v_lshlrev_b16_e32 v8, 8, v8
	v_lshlrev_b16_e32 v4, 8, v4
	v_or_b32_sdwa v8, v2, v8 dst_sel:DWORD dst_unused:UNUSED_PAD src0_sel:BYTE_0 src1_sel:DWORD
	v_or_b32_sdwa v3, v3, v4 dst_sel:WORD_1 dst_unused:UNUSED_PAD src0_sel:BYTE_0 src1_sel:DWORD
	v_or_b32_sdwa v10, v8, v3 dst_sel:DWORD dst_unused:UNUSED_PAD src0_sel:WORD_0 src1_sel:DWORD
	v_cmp_ne_u32_e32 vcc, 0, v0
	s_waitcnt lgkmcnt(0)
	s_barrier
	s_and_saveexec_b64 s[0:1], vcc
	s_cbranch_execz .LBB77_7
; %bb.6:
	v_add_u32_e32 v0, -2, v5
	ds_read_u8 v0, v0
	s_mov_b32 s5, 0x3020104
	s_waitcnt lgkmcnt(0)
	v_add_u16_e32 v0, v0, v2
	v_perm_b32 v10, v0, v10, s5
.LBB77_7:
	s_or_b64 exec, exec, s[0:1]
.LBB77_8:
	s_add_u32 s0, s2, s4
	s_addc_u32 s1, s3, 0
	s_waitcnt vmcnt(0)
	v_mov_b32_e32 v2, s1
	v_add_co_u32_e32 v0, vcc, s0, v1
	v_addc_co_u32_e32 v1, vcc, 0, v2, vcc
	v_lshlrev_b16_e32 v2, 8, v7
	v_or_b32_sdwa v2, v9, v2 dst_sel:DWORD dst_unused:UNUSED_PAD src0_sel:BYTE_0 src1_sel:DWORD
	global_store_byte v[0:1], v6, off offset:6
	global_store_short v[0:1], v2, off offset:4
	global_store_dword v[0:1], v10, off
	s_endpgm
	.section	.rodata,"a",@progbits
	.p2align	6, 0x0
	.amdhsa_kernel _Z20subtract_left_kernelIthhN6hipcub3SumELj256ELj7EEvPKT_PT1_
		.amdhsa_group_segment_fixed_size 1024
		.amdhsa_private_segment_fixed_size 0
		.amdhsa_kernarg_size 16
		.amdhsa_user_sgpr_count 6
		.amdhsa_user_sgpr_private_segment_buffer 1
		.amdhsa_user_sgpr_dispatch_ptr 0
		.amdhsa_user_sgpr_queue_ptr 0
		.amdhsa_user_sgpr_kernarg_segment_ptr 1
		.amdhsa_user_sgpr_dispatch_id 0
		.amdhsa_user_sgpr_flat_scratch_init 0
		.amdhsa_user_sgpr_kernarg_preload_length 0
		.amdhsa_user_sgpr_kernarg_preload_offset 0
		.amdhsa_user_sgpr_private_segment_size 0
		.amdhsa_uses_dynamic_stack 0
		.amdhsa_system_sgpr_private_segment_wavefront_offset 0
		.amdhsa_system_sgpr_workgroup_id_x 1
		.amdhsa_system_sgpr_workgroup_id_y 0
		.amdhsa_system_sgpr_workgroup_id_z 0
		.amdhsa_system_sgpr_workgroup_info 0
		.amdhsa_system_vgpr_workitem_id 0
		.amdhsa_next_free_vgpr 14
		.amdhsa_next_free_sgpr 10
		.amdhsa_accum_offset 16
		.amdhsa_reserve_vcc 1
		.amdhsa_reserve_flat_scratch 0
		.amdhsa_float_round_mode_32 0
		.amdhsa_float_round_mode_16_64 0
		.amdhsa_float_denorm_mode_32 3
		.amdhsa_float_denorm_mode_16_64 3
		.amdhsa_dx10_clamp 1
		.amdhsa_ieee_mode 1
		.amdhsa_fp16_overflow 0
		.amdhsa_tg_split 0
		.amdhsa_exception_fp_ieee_invalid_op 0
		.amdhsa_exception_fp_denorm_src 0
		.amdhsa_exception_fp_ieee_div_zero 0
		.amdhsa_exception_fp_ieee_overflow 0
		.amdhsa_exception_fp_ieee_underflow 0
		.amdhsa_exception_fp_ieee_inexact 0
		.amdhsa_exception_int_div_zero 0
	.end_amdhsa_kernel
	.section	.text._Z20subtract_left_kernelIthhN6hipcub3SumELj256ELj7EEvPKT_PT1_,"axG",@progbits,_Z20subtract_left_kernelIthhN6hipcub3SumELj256ELj7EEvPKT_PT1_,comdat
.Lfunc_end77:
	.size	_Z20subtract_left_kernelIthhN6hipcub3SumELj256ELj7EEvPKT_PT1_, .Lfunc_end77-_Z20subtract_left_kernelIthhN6hipcub3SumELj256ELj7EEvPKT_PT1_
                                        ; -- End function
	.section	.AMDGPU.csdata,"",@progbits
; Kernel info:
; codeLenInByte = 476
; NumSgprs: 14
; NumVgprs: 14
; NumAgprs: 0
; TotalNumVgprs: 14
; ScratchSize: 0
; MemoryBound: 0
; FloatMode: 240
; IeeeMode: 1
; LDSByteSize: 1024 bytes/workgroup (compile time only)
; SGPRBlocks: 1
; VGPRBlocks: 1
; NumSGPRsForWavesPerEU: 14
; NumVGPRsForWavesPerEU: 14
; AccumOffset: 16
; Occupancy: 8
; WaveLimiterHint : 0
; COMPUTE_PGM_RSRC2:SCRATCH_EN: 0
; COMPUTE_PGM_RSRC2:USER_SGPR: 6
; COMPUTE_PGM_RSRC2:TRAP_HANDLER: 0
; COMPUTE_PGM_RSRC2:TGID_X_EN: 1
; COMPUTE_PGM_RSRC2:TGID_Y_EN: 0
; COMPUTE_PGM_RSRC2:TGID_Z_EN: 0
; COMPUTE_PGM_RSRC2:TIDIG_COMP_CNT: 0
; COMPUTE_PGM_RSRC3_GFX90A:ACCUM_OFFSET: 3
; COMPUTE_PGM_RSRC3_GFX90A:TG_SPLIT: 0
	.section	.text._Z20subtract_left_kernelIiss10custom_op2Lj128ELj4EEvPKT_PT1_,"axG",@progbits,_Z20subtract_left_kernelIiss10custom_op2Lj128ELj4EEvPKT_PT1_,comdat
	.protected	_Z20subtract_left_kernelIiss10custom_op2Lj128ELj4EEvPKT_PT1_ ; -- Begin function _Z20subtract_left_kernelIiss10custom_op2Lj128ELj4EEvPKT_PT1_
	.globl	_Z20subtract_left_kernelIiss10custom_op2Lj128ELj4EEvPKT_PT1_
	.p2align	8
	.type	_Z20subtract_left_kernelIiss10custom_op2Lj128ELj4EEvPKT_PT1_,@function
_Z20subtract_left_kernelIiss10custom_op2Lj128ELj4EEvPKT_PT1_: ; @_Z20subtract_left_kernelIiss10custom_op2Lj128ELj4EEvPKT_PT1_
; %bb.0:
	s_load_dwordx4 s[0:3], s[4:5], 0x0
	s_lshl_b32 s4, s6, 9
	s_mov_b32 s5, 0
	s_lshl_b64 s[8:9], s[4:5], 2
	v_lshlrev_b32_e32 v1, 4, v0
	s_waitcnt lgkmcnt(0)
	s_add_u32 s8, s0, s8
	s_addc_u32 s9, s1, s9
	global_load_dwordx4 v[2:5], v1, s[8:9]
	v_lshlrev_b32_e32 v1, 2, v0
	s_bitcmp0_b32 s6, 0
	v_cmp_ne_u32_e32 vcc, 0, v0
	s_cbranch_scc1 .LBB78_4
; %bb.1:
	s_add_i32 s6, s4, -1
	s_mov_b32 s7, s5
	s_lshl_b64 s[6:7], s[6:7], 2
	s_add_u32 s0, s0, s6
	s_addc_u32 s1, s1, s7
	s_load_dword s0, s[0:1], 0x0
	s_waitcnt vmcnt(0)
	ds_write_b32 v1, v5
	s_waitcnt lgkmcnt(0)
	s_barrier
	v_mov_b32_e32 v6, s0
	s_and_saveexec_b64 s[0:1], vcc
	s_cbranch_execz .LBB78_3
; %bb.2:
	v_add_u32_e32 v6, -4, v1
	ds_read_b32 v6, v6
.LBB78_3:
	s_or_b64 exec, exec, s[0:1]
	v_lshlrev_b32_e32 v7, 1, v4
	v_lshlrev_b32_e32 v8, 1, v3
	;; [unrolled: 1-line block ×3, first 2 shown]
	s_waitcnt lgkmcnt(0)
	v_lshlrev_b32_e32 v6, 1, v6
	v_sub_u32_e32 v7, v7, v5
	v_sub_u32_e32 v9, v9, v3
	;; [unrolled: 1-line block ×4, first 2 shown]
	s_mov_b32 s0, 0x5040100
	v_perm_b32 v6, v9, v6, s0
	v_perm_b32 v7, v7, v8, s0
	s_branch .LBB78_8
.LBB78_4:
                                        ; implicit-def: $vgpr7
	s_cbranch_execz .LBB78_8
; %bb.5:
	s_waitcnt vmcnt(0)
	v_lshlrev_b32_e32 v6, 1, v3
	v_lshlrev_b32_e32 v7, 1, v4
	v_sub_u32_e32 v4, v6, v4
	v_lshlrev_b32_e32 v6, 1, v2
	ds_write_b32 v1, v5
	v_sub_u32_e32 v5, v7, v5
	v_sub_u32_e32 v3, v6, v3
	s_mov_b32 s0, 0x5040100
	v_perm_b32 v6, v3, v2, s0
	v_perm_b32 v7, v5, v4, s0
	v_cmp_ne_u32_e32 vcc, 0, v0
	s_waitcnt lgkmcnt(0)
	s_barrier
	s_and_saveexec_b64 s[0:1], vcc
	s_cbranch_execz .LBB78_7
; %bb.6:
	v_add_u32_e32 v0, -4, v1
	ds_read_b32 v0, v0
	s_mov_b32 s6, 0xffff
	s_waitcnt lgkmcnt(0)
	v_lshlrev_b32_e32 v0, 1, v0
	v_sub_u32_e32 v0, v0, v2
	v_bfi_b32 v6, s6, v0, v6
.LBB78_7:
	s_or_b64 exec, exec, s[0:1]
.LBB78_8:
	s_lshl_b64 s[0:1], s[4:5], 1
	s_add_u32 s0, s2, s0
	s_addc_u32 s1, s3, s1
	v_lshlrev_b32_e32 v0, 1, v1
	global_store_dwordx2 v0, v[6:7], s[0:1]
	s_endpgm
	.section	.rodata,"a",@progbits
	.p2align	6, 0x0
	.amdhsa_kernel _Z20subtract_left_kernelIiss10custom_op2Lj128ELj4EEvPKT_PT1_
		.amdhsa_group_segment_fixed_size 1024
		.amdhsa_private_segment_fixed_size 0
		.amdhsa_kernarg_size 16
		.amdhsa_user_sgpr_count 6
		.amdhsa_user_sgpr_private_segment_buffer 1
		.amdhsa_user_sgpr_dispatch_ptr 0
		.amdhsa_user_sgpr_queue_ptr 0
		.amdhsa_user_sgpr_kernarg_segment_ptr 1
		.amdhsa_user_sgpr_dispatch_id 0
		.amdhsa_user_sgpr_flat_scratch_init 0
		.amdhsa_user_sgpr_kernarg_preload_length 0
		.amdhsa_user_sgpr_kernarg_preload_offset 0
		.amdhsa_user_sgpr_private_segment_size 0
		.amdhsa_uses_dynamic_stack 0
		.amdhsa_system_sgpr_private_segment_wavefront_offset 0
		.amdhsa_system_sgpr_workgroup_id_x 1
		.amdhsa_system_sgpr_workgroup_id_y 0
		.amdhsa_system_sgpr_workgroup_id_z 0
		.amdhsa_system_sgpr_workgroup_info 0
		.amdhsa_system_vgpr_workitem_id 0
		.amdhsa_next_free_vgpr 10
		.amdhsa_next_free_sgpr 10
		.amdhsa_accum_offset 12
		.amdhsa_reserve_vcc 1
		.amdhsa_reserve_flat_scratch 0
		.amdhsa_float_round_mode_32 0
		.amdhsa_float_round_mode_16_64 0
		.amdhsa_float_denorm_mode_32 3
		.amdhsa_float_denorm_mode_16_64 3
		.amdhsa_dx10_clamp 1
		.amdhsa_ieee_mode 1
		.amdhsa_fp16_overflow 0
		.amdhsa_tg_split 0
		.amdhsa_exception_fp_ieee_invalid_op 0
		.amdhsa_exception_fp_denorm_src 0
		.amdhsa_exception_fp_ieee_div_zero 0
		.amdhsa_exception_fp_ieee_overflow 0
		.amdhsa_exception_fp_ieee_underflow 0
		.amdhsa_exception_fp_ieee_inexact 0
		.amdhsa_exception_int_div_zero 0
	.end_amdhsa_kernel
	.section	.text._Z20subtract_left_kernelIiss10custom_op2Lj128ELj4EEvPKT_PT1_,"axG",@progbits,_Z20subtract_left_kernelIiss10custom_op2Lj128ELj4EEvPKT_PT1_,comdat
.Lfunc_end78:
	.size	_Z20subtract_left_kernelIiss10custom_op2Lj128ELj4EEvPKT_PT1_, .Lfunc_end78-_Z20subtract_left_kernelIiss10custom_op2Lj128ELj4EEvPKT_PT1_
                                        ; -- End function
	.section	.AMDGPU.csdata,"",@progbits
; Kernel info:
; codeLenInByte = 356
; NumSgprs: 14
; NumVgprs: 10
; NumAgprs: 0
; TotalNumVgprs: 10
; ScratchSize: 0
; MemoryBound: 0
; FloatMode: 240
; IeeeMode: 1
; LDSByteSize: 1024 bytes/workgroup (compile time only)
; SGPRBlocks: 1
; VGPRBlocks: 1
; NumSGPRsForWavesPerEU: 14
; NumVGPRsForWavesPerEU: 10
; AccumOffset: 12
; Occupancy: 8
; WaveLimiterHint : 0
; COMPUTE_PGM_RSRC2:SCRATCH_EN: 0
; COMPUTE_PGM_RSRC2:USER_SGPR: 6
; COMPUTE_PGM_RSRC2:TRAP_HANDLER: 0
; COMPUTE_PGM_RSRC2:TGID_X_EN: 1
; COMPUTE_PGM_RSRC2:TGID_Y_EN: 0
; COMPUTE_PGM_RSRC2:TGID_Z_EN: 0
; COMPUTE_PGM_RSRC2:TIDIG_COMP_CNT: 0
; COMPUTE_PGM_RSRC3_GFX90A:ACCUM_OFFSET: 2
; COMPUTE_PGM_RSRC3_GFX90A:TG_SPLIT: 0
	.section	.text._Z20subtract_left_kernelIicc10custom_op1Lj64ELj2EEvPKT_PT1_,"axG",@progbits,_Z20subtract_left_kernelIicc10custom_op1Lj64ELj2EEvPKT_PT1_,comdat
	.protected	_Z20subtract_left_kernelIicc10custom_op1Lj64ELj2EEvPKT_PT1_ ; -- Begin function _Z20subtract_left_kernelIicc10custom_op1Lj64ELj2EEvPKT_PT1_
	.globl	_Z20subtract_left_kernelIicc10custom_op1Lj64ELj2EEvPKT_PT1_
	.p2align	8
	.type	_Z20subtract_left_kernelIicc10custom_op1Lj64ELj2EEvPKT_PT1_,@function
_Z20subtract_left_kernelIicc10custom_op1Lj64ELj2EEvPKT_PT1_: ; @_Z20subtract_left_kernelIicc10custom_op1Lj64ELj2EEvPKT_PT1_
; %bb.0:
	s_load_dwordx4 s[0:3], s[4:5], 0x0
	s_lshl_b32 s4, s6, 7
	s_mov_b32 s5, 0
	s_lshl_b64 s[8:9], s[4:5], 2
	v_lshlrev_b32_e32 v1, 3, v0
	s_waitcnt lgkmcnt(0)
	s_add_u32 s8, s0, s8
	s_addc_u32 s9, s1, s9
	global_load_dwordx2 v[2:3], v1, s[8:9]
	v_lshlrev_b32_e32 v1, 1, v0
	s_bitcmp0_b32 s6, 0
	v_lshlrev_b32_e32 v4, 2, v0
	v_cmp_ne_u32_e32 vcc, 0, v0
	s_cbranch_scc1 .LBB79_4
; %bb.1:
	s_add_i32 s6, s4, -1
	s_mov_b32 s7, s5
	s_lshl_b64 s[6:7], s[6:7], 2
	s_add_u32 s0, s0, s6
	s_addc_u32 s1, s1, s7
	s_load_dword s0, s[0:1], 0x0
	s_waitcnt vmcnt(0)
	ds_write_b32 v4, v3
	s_waitcnt lgkmcnt(0)
	; wave barrier
	s_waitcnt lgkmcnt(0)
	v_mov_b32_e32 v5, s0
	s_and_saveexec_b64 s[0:1], vcc
	s_cbranch_execz .LBB79_3
; %bb.2:
	v_add_u32_e32 v5, -4, v4
	ds_read_b32 v5, v5
.LBB79_3:
	s_or_b64 exec, exec, s[0:1]
	v_sub_u32_sdwa v6, v3, v2 dst_sel:BYTE_1 dst_unused:UNUSED_PAD src0_sel:DWORD src1_sel:DWORD
	s_waitcnt lgkmcnt(0)
	v_sub_u32_e32 v5, v2, v5
	v_or_b32_sdwa v5, v5, v6 dst_sel:DWORD dst_unused:UNUSED_PAD src0_sel:BYTE_0 src1_sel:DWORD
	v_and_b32_e32 v5, 0xffff, v5
	s_branch .LBB79_8
.LBB79_4:
                                        ; implicit-def: $vgpr5
	s_cbranch_execz .LBB79_8
; %bb.5:
	s_waitcnt vmcnt(0)
	ds_write_b32 v4, v3
	v_sub_u32_sdwa v3, v3, v2 dst_sel:BYTE_1 dst_unused:UNUSED_PAD src0_sel:DWORD src1_sel:DWORD
	v_or_b32_sdwa v3, v2, v3 dst_sel:DWORD dst_unused:UNUSED_PAD src0_sel:BYTE_0 src1_sel:DWORD
	v_and_b32_e32 v5, 0xffff, v3
	v_cmp_ne_u32_e32 vcc, 0, v0
	s_waitcnt lgkmcnt(0)
	; wave barrier
	s_waitcnt lgkmcnt(0)
	s_and_saveexec_b64 s[0:1], vcc
	s_cbranch_execz .LBB79_7
; %bb.6:
	v_add_u32_e32 v0, -4, v4
	ds_read_b32 v0, v0
	v_and_b32_e32 v3, 0xffffff00, v5
	s_waitcnt lgkmcnt(0)
	v_sub_u32_e32 v0, v2, v0
	v_or_b32_sdwa v0, v0, v3 dst_sel:DWORD dst_unused:UNUSED_PAD src0_sel:BYTE_0 src1_sel:DWORD
	v_and_b32_e32 v5, 0xffff, v0
.LBB79_7:
	s_or_b64 exec, exec, s[0:1]
.LBB79_8:
	s_add_u32 s0, s2, s4
	s_addc_u32 s1, s3, 0
	s_waitcnt vmcnt(0)
	v_mov_b32_e32 v2, s1
	v_add_co_u32_e32 v0, vcc, s0, v1
	v_addc_co_u32_e32 v1, vcc, 0, v2, vcc
	global_store_short v[0:1], v5, off
	s_endpgm
	.section	.rodata,"a",@progbits
	.p2align	6, 0x0
	.amdhsa_kernel _Z20subtract_left_kernelIicc10custom_op1Lj64ELj2EEvPKT_PT1_
		.amdhsa_group_segment_fixed_size 512
		.amdhsa_private_segment_fixed_size 0
		.amdhsa_kernarg_size 16
		.amdhsa_user_sgpr_count 6
		.amdhsa_user_sgpr_private_segment_buffer 1
		.amdhsa_user_sgpr_dispatch_ptr 0
		.amdhsa_user_sgpr_queue_ptr 0
		.amdhsa_user_sgpr_kernarg_segment_ptr 1
		.amdhsa_user_sgpr_dispatch_id 0
		.amdhsa_user_sgpr_flat_scratch_init 0
		.amdhsa_user_sgpr_kernarg_preload_length 0
		.amdhsa_user_sgpr_kernarg_preload_offset 0
		.amdhsa_user_sgpr_private_segment_size 0
		.amdhsa_uses_dynamic_stack 0
		.amdhsa_system_sgpr_private_segment_wavefront_offset 0
		.amdhsa_system_sgpr_workgroup_id_x 1
		.amdhsa_system_sgpr_workgroup_id_y 0
		.amdhsa_system_sgpr_workgroup_id_z 0
		.amdhsa_system_sgpr_workgroup_info 0
		.amdhsa_system_vgpr_workitem_id 0
		.amdhsa_next_free_vgpr 7
		.amdhsa_next_free_sgpr 10
		.amdhsa_accum_offset 8
		.amdhsa_reserve_vcc 1
		.amdhsa_reserve_flat_scratch 0
		.amdhsa_float_round_mode_32 0
		.amdhsa_float_round_mode_16_64 0
		.amdhsa_float_denorm_mode_32 3
		.amdhsa_float_denorm_mode_16_64 3
		.amdhsa_dx10_clamp 1
		.amdhsa_ieee_mode 1
		.amdhsa_fp16_overflow 0
		.amdhsa_tg_split 0
		.amdhsa_exception_fp_ieee_invalid_op 0
		.amdhsa_exception_fp_denorm_src 0
		.amdhsa_exception_fp_ieee_div_zero 0
		.amdhsa_exception_fp_ieee_overflow 0
		.amdhsa_exception_fp_ieee_underflow 0
		.amdhsa_exception_fp_ieee_inexact 0
		.amdhsa_exception_int_div_zero 0
	.end_amdhsa_kernel
	.section	.text._Z20subtract_left_kernelIicc10custom_op1Lj64ELj2EEvPKT_PT1_,"axG",@progbits,_Z20subtract_left_kernelIicc10custom_op1Lj64ELj2EEvPKT_PT1_,comdat
.Lfunc_end79:
	.size	_Z20subtract_left_kernelIicc10custom_op1Lj64ELj2EEvPKT_PT1_, .Lfunc_end79-_Z20subtract_left_kernelIicc10custom_op1Lj64ELj2EEvPKT_PT1_
                                        ; -- End function
	.section	.AMDGPU.csdata,"",@progbits
; Kernel info:
; codeLenInByte = 320
; NumSgprs: 14
; NumVgprs: 7
; NumAgprs: 0
; TotalNumVgprs: 7
; ScratchSize: 0
; MemoryBound: 0
; FloatMode: 240
; IeeeMode: 1
; LDSByteSize: 512 bytes/workgroup (compile time only)
; SGPRBlocks: 1
; VGPRBlocks: 0
; NumSGPRsForWavesPerEU: 14
; NumVGPRsForWavesPerEU: 7
; AccumOffset: 8
; Occupancy: 8
; WaveLimiterHint : 0
; COMPUTE_PGM_RSRC2:SCRATCH_EN: 0
; COMPUTE_PGM_RSRC2:USER_SGPR: 6
; COMPUTE_PGM_RSRC2:TRAP_HANDLER: 0
; COMPUTE_PGM_RSRC2:TGID_X_EN: 1
; COMPUTE_PGM_RSRC2:TGID_Y_EN: 0
; COMPUTE_PGM_RSRC2:TGID_Z_EN: 0
; COMPUTE_PGM_RSRC2:TIDIG_COMP_CNT: 0
; COMPUTE_PGM_RSRC3_GFX90A:ACCUM_OFFSET: 1
; COMPUTE_PGM_RSRC3_GFX90A:TG_SPLIT: 0
	.section	.text._Z20subtract_left_kernelIhbiN6hipcub3SumELj255ELj1EEvPKT_PT1_,"axG",@progbits,_Z20subtract_left_kernelIhbiN6hipcub3SumELj255ELj1EEvPKT_PT1_,comdat
	.protected	_Z20subtract_left_kernelIhbiN6hipcub3SumELj255ELj1EEvPKT_PT1_ ; -- Begin function _Z20subtract_left_kernelIhbiN6hipcub3SumELj255ELj1EEvPKT_PT1_
	.globl	_Z20subtract_left_kernelIhbiN6hipcub3SumELj255ELj1EEvPKT_PT1_
	.p2align	8
	.type	_Z20subtract_left_kernelIhbiN6hipcub3SumELj255ELj1EEvPKT_PT1_,@function
_Z20subtract_left_kernelIhbiN6hipcub3SumELj255ELj1EEvPKT_PT1_: ; @_Z20subtract_left_kernelIhbiN6hipcub3SumELj255ELj1EEvPKT_PT1_
; %bb.0:
	s_load_dwordx4 s[0:3], s[4:5], 0x0
	s_mul_i32 s4, s6, 0xff
	s_mov_b32 s5, 0
	v_cmp_ne_u32_e32 vcc, 0, v0
	s_waitcnt lgkmcnt(0)
	s_add_u32 s8, s0, s4
	s_addc_u32 s9, s1, 0
	global_load_ubyte v1, v0, s[8:9]
	s_bitcmp0_b32 s6, 0
	s_cbranch_scc1 .LBB80_4
; %bb.1:
	s_add_i32 s6, s4, -1
	v_mov_b32_e32 v2, s6
	global_load_ubyte v2, v2, s[0:1]
	s_waitcnt vmcnt(1)
	ds_write_b8 v0, v1
	s_waitcnt lgkmcnt(0)
	s_barrier
	s_and_saveexec_b64 s[0:1], vcc
	s_cbranch_execz .LBB80_3
; %bb.2:
	s_waitcnt vmcnt(0)
	v_add_u32_e32 v2, -1, v0
	ds_read_u8 v2, v2
.LBB80_3:
	s_or_b64 exec, exec, s[0:1]
	s_waitcnt vmcnt(0) lgkmcnt(0)
	v_or_b32_e32 v2, v2, v1
	s_branch .LBB80_8
.LBB80_4:
                                        ; implicit-def: $vgpr2
	s_cbranch_execz .LBB80_8
; %bb.5:
	v_cmp_ne_u32_e32 vcc, 0, v0
	s_waitcnt vmcnt(0)
	ds_write_b8 v0, v1
	s_waitcnt lgkmcnt(0)
	s_barrier
	s_and_saveexec_b64 s[0:1], vcc
	s_cbranch_execz .LBB80_7
; %bb.6:
	v_add_u32_e32 v2, -1, v0
	ds_read_u8 v2, v2
	s_waitcnt lgkmcnt(0)
	v_or_b32_e32 v1, v2, v1
.LBB80_7:
	s_or_b64 exec, exec, s[0:1]
	v_mov_b32_e32 v2, v1
.LBB80_8:
	s_lshl_b64 s[0:1], s[4:5], 2
	s_waitcnt vmcnt(0)
	v_mov_b32_e32 v1, 0
	s_add_u32 s0, s2, s0
	s_addc_u32 s1, s3, s1
	v_cmp_ne_u16_sdwa s[2:3], v2, v1 src0_sel:BYTE_0 src1_sel:DWORD
	v_lshlrev_b32_e32 v0, 2, v0
	v_cndmask_b32_e64 v1, 0, 1, s[2:3]
	global_store_dword v0, v1, s[0:1]
	s_endpgm
	.section	.rodata,"a",@progbits
	.p2align	6, 0x0
	.amdhsa_kernel _Z20subtract_left_kernelIhbiN6hipcub3SumELj255ELj1EEvPKT_PT1_
		.amdhsa_group_segment_fixed_size 510
		.amdhsa_private_segment_fixed_size 0
		.amdhsa_kernarg_size 16
		.amdhsa_user_sgpr_count 6
		.amdhsa_user_sgpr_private_segment_buffer 1
		.amdhsa_user_sgpr_dispatch_ptr 0
		.amdhsa_user_sgpr_queue_ptr 0
		.amdhsa_user_sgpr_kernarg_segment_ptr 1
		.amdhsa_user_sgpr_dispatch_id 0
		.amdhsa_user_sgpr_flat_scratch_init 0
		.amdhsa_user_sgpr_kernarg_preload_length 0
		.amdhsa_user_sgpr_kernarg_preload_offset 0
		.amdhsa_user_sgpr_private_segment_size 0
		.amdhsa_uses_dynamic_stack 0
		.amdhsa_system_sgpr_private_segment_wavefront_offset 0
		.amdhsa_system_sgpr_workgroup_id_x 1
		.amdhsa_system_sgpr_workgroup_id_y 0
		.amdhsa_system_sgpr_workgroup_id_z 0
		.amdhsa_system_sgpr_workgroup_info 0
		.amdhsa_system_vgpr_workitem_id 0
		.amdhsa_next_free_vgpr 3
		.amdhsa_next_free_sgpr 10
		.amdhsa_accum_offset 4
		.amdhsa_reserve_vcc 1
		.amdhsa_reserve_flat_scratch 0
		.amdhsa_float_round_mode_32 0
		.amdhsa_float_round_mode_16_64 0
		.amdhsa_float_denorm_mode_32 3
		.amdhsa_float_denorm_mode_16_64 3
		.amdhsa_dx10_clamp 1
		.amdhsa_ieee_mode 1
		.amdhsa_fp16_overflow 0
		.amdhsa_tg_split 0
		.amdhsa_exception_fp_ieee_invalid_op 0
		.amdhsa_exception_fp_denorm_src 0
		.amdhsa_exception_fp_ieee_div_zero 0
		.amdhsa_exception_fp_ieee_overflow 0
		.amdhsa_exception_fp_ieee_underflow 0
		.amdhsa_exception_fp_ieee_inexact 0
		.amdhsa_exception_int_div_zero 0
	.end_amdhsa_kernel
	.section	.text._Z20subtract_left_kernelIhbiN6hipcub3SumELj255ELj1EEvPKT_PT1_,"axG",@progbits,_Z20subtract_left_kernelIhbiN6hipcub3SumELj255ELj1EEvPKT_PT1_,comdat
.Lfunc_end80:
	.size	_Z20subtract_left_kernelIhbiN6hipcub3SumELj255ELj1EEvPKT_PT1_, .Lfunc_end80-_Z20subtract_left_kernelIhbiN6hipcub3SumELj255ELj1EEvPKT_PT1_
                                        ; -- End function
	.section	.AMDGPU.csdata,"",@progbits
; Kernel info:
; codeLenInByte = 244
; NumSgprs: 14
; NumVgprs: 3
; NumAgprs: 0
; TotalNumVgprs: 3
; ScratchSize: 0
; MemoryBound: 0
; FloatMode: 240
; IeeeMode: 1
; LDSByteSize: 510 bytes/workgroup (compile time only)
; SGPRBlocks: 1
; VGPRBlocks: 0
; NumSGPRsForWavesPerEU: 14
; NumVGPRsForWavesPerEU: 3
; AccumOffset: 4
; Occupancy: 8
; WaveLimiterHint : 0
; COMPUTE_PGM_RSRC2:SCRATCH_EN: 0
; COMPUTE_PGM_RSRC2:USER_SGPR: 6
; COMPUTE_PGM_RSRC2:TRAP_HANDLER: 0
; COMPUTE_PGM_RSRC2:TGID_X_EN: 1
; COMPUTE_PGM_RSRC2:TGID_Y_EN: 0
; COMPUTE_PGM_RSRC2:TGID_Z_EN: 0
; COMPUTE_PGM_RSRC2:TIDIG_COMP_CNT: 0
; COMPUTE_PGM_RSRC3_GFX90A:ACCUM_OFFSET: 0
; COMPUTE_PGM_RSRC3_GFX90A:TG_SPLIT: 0
	.section	.text._Z20subtract_left_kernelIjxx10custom_op2Lj162ELj1EEvPKT_PT1_,"axG",@progbits,_Z20subtract_left_kernelIjxx10custom_op2Lj162ELj1EEvPKT_PT1_,comdat
	.protected	_Z20subtract_left_kernelIjxx10custom_op2Lj162ELj1EEvPKT_PT1_ ; -- Begin function _Z20subtract_left_kernelIjxx10custom_op2Lj162ELj1EEvPKT_PT1_
	.globl	_Z20subtract_left_kernelIjxx10custom_op2Lj162ELj1EEvPKT_PT1_
	.p2align	8
	.type	_Z20subtract_left_kernelIjxx10custom_op2Lj162ELj1EEvPKT_PT1_,@function
_Z20subtract_left_kernelIjxx10custom_op2Lj162ELj1EEvPKT_PT1_: ; @_Z20subtract_left_kernelIjxx10custom_op2Lj162ELj1EEvPKT_PT1_
; %bb.0:
	s_load_dwordx4 s[0:3], s[4:5], 0x0
	s_mul_i32 s4, s6, 0xa2
	s_mov_b32 s5, 0
	s_lshl_b64 s[8:9], s[4:5], 2
	v_lshlrev_b32_e32 v3, 2, v0
	s_waitcnt lgkmcnt(0)
	s_add_u32 s8, s0, s8
	s_addc_u32 s9, s1, s9
	global_load_dword v1, v3, s[8:9]
	s_bitcmp0_b32 s6, 0
	v_cmp_ne_u32_e32 vcc, 0, v0
	s_cbranch_scc1 .LBB81_4
; %bb.1:
	s_add_i32 s6, s4, -1
	s_mov_b32 s7, s5
	s_lshl_b64 s[6:7], s[6:7], 2
	s_add_u32 s0, s0, s6
	s_addc_u32 s1, s1, s7
	s_load_dword s0, s[0:1], 0x0
	s_waitcnt vmcnt(0)
	ds_write_b32 v3, v1
	s_waitcnt lgkmcnt(0)
	s_barrier
	v_mov_b32_e32 v2, s0
	s_and_saveexec_b64 s[0:1], vcc
	s_cbranch_execz .LBB81_3
; %bb.2:
	v_add_u32_e32 v2, -4, v3
	ds_read_b32 v2, v2
.LBB81_3:
	s_or_b64 exec, exec, s[0:1]
	s_waitcnt lgkmcnt(0)
	v_lshlrev_b32_e32 v2, 1, v2
	v_sub_u32_e32 v2, v2, v1
	s_branch .LBB81_8
.LBB81_4:
                                        ; implicit-def: $vgpr2
	s_cbranch_execz .LBB81_8
; %bb.5:
	v_cmp_ne_u32_e32 vcc, 0, v0
	s_waitcnt vmcnt(0)
	ds_write_b32 v3, v1
	s_waitcnt lgkmcnt(0)
	s_barrier
	s_and_saveexec_b64 s[0:1], vcc
	s_cbranch_execz .LBB81_7
; %bb.6:
	v_add_u32_e32 v2, -4, v3
	ds_read_b32 v2, v2
	s_waitcnt lgkmcnt(0)
	v_lshlrev_b32_e32 v2, 1, v2
	v_sub_u32_e32 v1, v2, v1
.LBB81_7:
	s_or_b64 exec, exec, s[0:1]
	v_mov_b32_e32 v2, v1
.LBB81_8:
	s_lshl_b64 s[0:1], s[4:5], 3
	s_add_u32 s0, s2, s0
	v_mov_b32_e32 v3, 0
	s_addc_u32 s1, s3, s1
	v_lshlrev_b32_e32 v0, 3, v0
	global_store_dwordx2 v0, v[2:3], s[0:1]
	s_endpgm
	.section	.rodata,"a",@progbits
	.p2align	6, 0x0
	.amdhsa_kernel _Z20subtract_left_kernelIjxx10custom_op2Lj162ELj1EEvPKT_PT1_
		.amdhsa_group_segment_fixed_size 1296
		.amdhsa_private_segment_fixed_size 0
		.amdhsa_kernarg_size 16
		.amdhsa_user_sgpr_count 6
		.amdhsa_user_sgpr_private_segment_buffer 1
		.amdhsa_user_sgpr_dispatch_ptr 0
		.amdhsa_user_sgpr_queue_ptr 0
		.amdhsa_user_sgpr_kernarg_segment_ptr 1
		.amdhsa_user_sgpr_dispatch_id 0
		.amdhsa_user_sgpr_flat_scratch_init 0
		.amdhsa_user_sgpr_kernarg_preload_length 0
		.amdhsa_user_sgpr_kernarg_preload_offset 0
		.amdhsa_user_sgpr_private_segment_size 0
		.amdhsa_uses_dynamic_stack 0
		.amdhsa_system_sgpr_private_segment_wavefront_offset 0
		.amdhsa_system_sgpr_workgroup_id_x 1
		.amdhsa_system_sgpr_workgroup_id_y 0
		.amdhsa_system_sgpr_workgroup_id_z 0
		.amdhsa_system_sgpr_workgroup_info 0
		.amdhsa_system_vgpr_workitem_id 0
		.amdhsa_next_free_vgpr 4
		.amdhsa_next_free_sgpr 10
		.amdhsa_accum_offset 4
		.amdhsa_reserve_vcc 1
		.amdhsa_reserve_flat_scratch 0
		.amdhsa_float_round_mode_32 0
		.amdhsa_float_round_mode_16_64 0
		.amdhsa_float_denorm_mode_32 3
		.amdhsa_float_denorm_mode_16_64 3
		.amdhsa_dx10_clamp 1
		.amdhsa_ieee_mode 1
		.amdhsa_fp16_overflow 0
		.amdhsa_tg_split 0
		.amdhsa_exception_fp_ieee_invalid_op 0
		.amdhsa_exception_fp_denorm_src 0
		.amdhsa_exception_fp_ieee_div_zero 0
		.amdhsa_exception_fp_ieee_overflow 0
		.amdhsa_exception_fp_ieee_underflow 0
		.amdhsa_exception_fp_ieee_inexact 0
		.amdhsa_exception_int_div_zero 0
	.end_amdhsa_kernel
	.section	.text._Z20subtract_left_kernelIjxx10custom_op2Lj162ELj1EEvPKT_PT1_,"axG",@progbits,_Z20subtract_left_kernelIjxx10custom_op2Lj162ELj1EEvPKT_PT1_,comdat
.Lfunc_end81:
	.size	_Z20subtract_left_kernelIjxx10custom_op2Lj162ELj1EEvPKT_PT1_, .Lfunc_end81-_Z20subtract_left_kernelIjxx10custom_op2Lj162ELj1EEvPKT_PT1_
                                        ; -- End function
	.section	.AMDGPU.csdata,"",@progbits
; Kernel info:
; codeLenInByte = 252
; NumSgprs: 14
; NumVgprs: 4
; NumAgprs: 0
; TotalNumVgprs: 4
; ScratchSize: 0
; MemoryBound: 0
; FloatMode: 240
; IeeeMode: 1
; LDSByteSize: 1296 bytes/workgroup (compile time only)
; SGPRBlocks: 1
; VGPRBlocks: 0
; NumSGPRsForWavesPerEU: 14
; NumVGPRsForWavesPerEU: 4
; AccumOffset: 4
; Occupancy: 8
; WaveLimiterHint : 0
; COMPUTE_PGM_RSRC2:SCRATCH_EN: 0
; COMPUTE_PGM_RSRC2:USER_SGPR: 6
; COMPUTE_PGM_RSRC2:TRAP_HANDLER: 0
; COMPUTE_PGM_RSRC2:TGID_X_EN: 1
; COMPUTE_PGM_RSRC2:TGID_Y_EN: 0
; COMPUTE_PGM_RSRC2:TGID_Z_EN: 0
; COMPUTE_PGM_RSRC2:TIDIG_COMP_CNT: 0
; COMPUTE_PGM_RSRC3_GFX90A:ACCUM_OFFSET: 0
; COMPUTE_PGM_RSRC3_GFX90A:TG_SPLIT: 0
	.section	.text._Z20subtract_left_kernelIxcc10custom_op1Lj510ELj1EEvPKT_PT1_,"axG",@progbits,_Z20subtract_left_kernelIxcc10custom_op1Lj510ELj1EEvPKT_PT1_,comdat
	.protected	_Z20subtract_left_kernelIxcc10custom_op1Lj510ELj1EEvPKT_PT1_ ; -- Begin function _Z20subtract_left_kernelIxcc10custom_op1Lj510ELj1EEvPKT_PT1_
	.globl	_Z20subtract_left_kernelIxcc10custom_op1Lj510ELj1EEvPKT_PT1_
	.p2align	8
	.type	_Z20subtract_left_kernelIxcc10custom_op1Lj510ELj1EEvPKT_PT1_,@function
_Z20subtract_left_kernelIxcc10custom_op1Lj510ELj1EEvPKT_PT1_: ; @_Z20subtract_left_kernelIxcc10custom_op1Lj510ELj1EEvPKT_PT1_
; %bb.0:
	s_load_dwordx4 s[0:3], s[4:5], 0x0
	s_mul_i32 s4, s6, 0x1fe
	s_mov_b32 s5, 0
	s_lshl_b64 s[8:9], s[4:5], 3
	v_lshlrev_b32_e32 v1, 3, v0
	s_waitcnt lgkmcnt(0)
	s_add_u32 s8, s0, s8
	s_addc_u32 s9, s1, s9
	global_load_dwordx2 v[2:3], v1, s[8:9]
	s_bitcmp0_b32 s6, 0
	v_cmp_ne_u32_e32 vcc, 0, v0
	s_cbranch_scc1 .LBB82_4
; %bb.1:
	s_add_i32 s6, s4, -1
	s_mov_b32 s7, s5
	s_lshl_b64 s[6:7], s[6:7], 3
	s_add_u32 s0, s0, s6
	s_addc_u32 s1, s1, s7
	s_load_dwordx2 s[0:1], s[0:1], 0x0
	s_waitcnt vmcnt(0)
	ds_write_b64 v1, v[2:3]
	s_waitcnt lgkmcnt(0)
	s_barrier
	v_pk_mov_b32 v[4:5], s[0:1], s[0:1] op_sel:[0,1]
	s_and_saveexec_b64 s[0:1], vcc
	s_cbranch_execz .LBB82_3
; %bb.2:
	v_add_u32_e32 v4, -8, v1
	ds_read_b64 v[4:5], v4
.LBB82_3:
	s_or_b64 exec, exec, s[0:1]
	s_waitcnt lgkmcnt(0)
	v_sub_co_u32_e32 v4, vcc, v2, v4
	s_branch .LBB82_8
.LBB82_4:
                                        ; implicit-def: $vgpr4_vgpr5
	s_cbranch_execz .LBB82_8
; %bb.5:
	v_cmp_ne_u32_e32 vcc, 0, v0
	s_waitcnt vmcnt(0)
	ds_write_b64 v1, v[2:3]
	s_waitcnt lgkmcnt(0)
	s_barrier
	s_and_saveexec_b64 s[0:1], vcc
	s_cbranch_execz .LBB82_7
; %bb.6:
	v_add_u32_e32 v1, -8, v1
	ds_read_b64 v[4:5], v1
	s_waitcnt lgkmcnt(0)
	v_sub_co_u32_e32 v2, vcc, v2, v4
.LBB82_7:
	s_or_b64 exec, exec, s[0:1]
	v_pk_mov_b32 v[4:5], v[2:3], v[2:3] op_sel:[0,1]
.LBB82_8:
	s_add_u32 s0, s2, s4
	s_addc_u32 s1, s3, 0
	v_mov_b32_e32 v1, s1
	v_add_co_u32_e32 v0, vcc, s0, v0
	v_addc_co_u32_e32 v1, vcc, 0, v1, vcc
	global_store_byte v[0:1], v4, off
	s_endpgm
	.section	.rodata,"a",@progbits
	.p2align	6, 0x0
	.amdhsa_kernel _Z20subtract_left_kernelIxcc10custom_op1Lj510ELj1EEvPKT_PT1_
		.amdhsa_group_segment_fixed_size 8160
		.amdhsa_private_segment_fixed_size 0
		.amdhsa_kernarg_size 16
		.amdhsa_user_sgpr_count 6
		.amdhsa_user_sgpr_private_segment_buffer 1
		.amdhsa_user_sgpr_dispatch_ptr 0
		.amdhsa_user_sgpr_queue_ptr 0
		.amdhsa_user_sgpr_kernarg_segment_ptr 1
		.amdhsa_user_sgpr_dispatch_id 0
		.amdhsa_user_sgpr_flat_scratch_init 0
		.amdhsa_user_sgpr_kernarg_preload_length 0
		.amdhsa_user_sgpr_kernarg_preload_offset 0
		.amdhsa_user_sgpr_private_segment_size 0
		.amdhsa_uses_dynamic_stack 0
		.amdhsa_system_sgpr_private_segment_wavefront_offset 0
		.amdhsa_system_sgpr_workgroup_id_x 1
		.amdhsa_system_sgpr_workgroup_id_y 0
		.amdhsa_system_sgpr_workgroup_id_z 0
		.amdhsa_system_sgpr_workgroup_info 0
		.amdhsa_system_vgpr_workitem_id 0
		.amdhsa_next_free_vgpr 6
		.amdhsa_next_free_sgpr 10
		.amdhsa_accum_offset 8
		.amdhsa_reserve_vcc 1
		.amdhsa_reserve_flat_scratch 0
		.amdhsa_float_round_mode_32 0
		.amdhsa_float_round_mode_16_64 0
		.amdhsa_float_denorm_mode_32 3
		.amdhsa_float_denorm_mode_16_64 3
		.amdhsa_dx10_clamp 1
		.amdhsa_ieee_mode 1
		.amdhsa_fp16_overflow 0
		.amdhsa_tg_split 0
		.amdhsa_exception_fp_ieee_invalid_op 0
		.amdhsa_exception_fp_denorm_src 0
		.amdhsa_exception_fp_ieee_div_zero 0
		.amdhsa_exception_fp_ieee_overflow 0
		.amdhsa_exception_fp_ieee_underflow 0
		.amdhsa_exception_fp_ieee_inexact 0
		.amdhsa_exception_int_div_zero 0
	.end_amdhsa_kernel
	.section	.text._Z20subtract_left_kernelIxcc10custom_op1Lj510ELj1EEvPKT_PT1_,"axG",@progbits,_Z20subtract_left_kernelIxcc10custom_op1Lj510ELj1EEvPKT_PT1_,comdat
.Lfunc_end82:
	.size	_Z20subtract_left_kernelIxcc10custom_op1Lj510ELj1EEvPKT_PT1_, .Lfunc_end82-_Z20subtract_left_kernelIxcc10custom_op1Lj510ELj1EEvPKT_PT1_
                                        ; -- End function
	.section	.AMDGPU.csdata,"",@progbits
; Kernel info:
; codeLenInByte = 252
; NumSgprs: 14
; NumVgprs: 6
; NumAgprs: 0
; TotalNumVgprs: 6
; ScratchSize: 0
; MemoryBound: 0
; FloatMode: 240
; IeeeMode: 1
; LDSByteSize: 8160 bytes/workgroup (compile time only)
; SGPRBlocks: 1
; VGPRBlocks: 0
; NumSGPRsForWavesPerEU: 14
; NumVGPRsForWavesPerEU: 6
; AccumOffset: 8
; Occupancy: 8
; WaveLimiterHint : 0
; COMPUTE_PGM_RSRC2:SCRATCH_EN: 0
; COMPUTE_PGM_RSRC2:USER_SGPR: 6
; COMPUTE_PGM_RSRC2:TRAP_HANDLER: 0
; COMPUTE_PGM_RSRC2:TGID_X_EN: 1
; COMPUTE_PGM_RSRC2:TGID_Y_EN: 0
; COMPUTE_PGM_RSRC2:TGID_Z_EN: 0
; COMPUTE_PGM_RSRC2:TIDIG_COMP_CNT: 0
; COMPUTE_PGM_RSRC3_GFX90A:ACCUM_OFFSET: 1
; COMPUTE_PGM_RSRC3_GFX90A:TG_SPLIT: 0
	.section	.text._Z20subtract_left_kernelIfiiN6hipcub3SumELj37ELj1EEvPKT_PT1_,"axG",@progbits,_Z20subtract_left_kernelIfiiN6hipcub3SumELj37ELj1EEvPKT_PT1_,comdat
	.protected	_Z20subtract_left_kernelIfiiN6hipcub3SumELj37ELj1EEvPKT_PT1_ ; -- Begin function _Z20subtract_left_kernelIfiiN6hipcub3SumELj37ELj1EEvPKT_PT1_
	.globl	_Z20subtract_left_kernelIfiiN6hipcub3SumELj37ELj1EEvPKT_PT1_
	.p2align	8
	.type	_Z20subtract_left_kernelIfiiN6hipcub3SumELj37ELj1EEvPKT_PT1_,@function
_Z20subtract_left_kernelIfiiN6hipcub3SumELj37ELj1EEvPKT_PT1_: ; @_Z20subtract_left_kernelIfiiN6hipcub3SumELj37ELj1EEvPKT_PT1_
; %bb.0:
	s_load_dwordx4 s[0:3], s[4:5], 0x0
	s_mul_i32 s8, s6, 37
	s_mov_b32 s9, 0
	s_lshl_b64 s[4:5], s[8:9], 2
	v_lshlrev_b32_e32 v1, 2, v0
	s_waitcnt lgkmcnt(0)
	s_add_u32 s10, s0, s4
	s_addc_u32 s11, s1, s5
	global_load_dword v2, v1, s[10:11]
	s_bitcmp0_b32 s6, 0
	v_cmp_ne_u32_e32 vcc, 0, v0
	s_cbranch_scc1 .LBB83_4
; %bb.1:
	s_add_i32 s8, s8, -1
	s_lshl_b64 s[6:7], s[8:9], 2
	s_add_u32 s0, s0, s6
	s_addc_u32 s1, s1, s7
	s_load_dword s0, s[0:1], 0x0
	s_waitcnt vmcnt(0)
	ds_write_b32 v1, v2
	s_waitcnt lgkmcnt(0)
	; wave barrier
	s_waitcnt lgkmcnt(0)
	v_mov_b32_e32 v3, s0
	s_and_saveexec_b64 s[0:1], vcc
	s_cbranch_execz .LBB83_3
; %bb.2:
	v_add_u32_e32 v3, -4, v1
	ds_read_b32 v3, v3
.LBB83_3:
	s_or_b64 exec, exec, s[0:1]
	s_waitcnt lgkmcnt(0)
	v_add_f32_e32 v3, v2, v3
	s_branch .LBB83_8
.LBB83_4:
                                        ; implicit-def: $vgpr3
	s_cbranch_execz .LBB83_8
; %bb.5:
	v_cmp_ne_u32_e32 vcc, 0, v0
	s_waitcnt vmcnt(0)
	ds_write_b32 v1, v2
	s_waitcnt lgkmcnt(0)
	; wave barrier
	s_waitcnt lgkmcnt(0)
	s_and_saveexec_b64 s[0:1], vcc
	s_cbranch_execz .LBB83_7
; %bb.6:
	v_add_u32_e32 v0, -4, v1
	ds_read_b32 v0, v0
	s_waitcnt lgkmcnt(0)
	v_add_f32_e32 v2, v2, v0
.LBB83_7:
	s_or_b64 exec, exec, s[0:1]
	v_mov_b32_e32 v3, v2
.LBB83_8:
	v_cvt_i32_f32_e32 v0, v3
	s_add_u32 s0, s2, s4
	s_addc_u32 s1, s3, s5
	global_store_dword v1, v0, s[0:1]
	s_endpgm
	.section	.rodata,"a",@progbits
	.p2align	6, 0x0
	.amdhsa_kernel _Z20subtract_left_kernelIfiiN6hipcub3SumELj37ELj1EEvPKT_PT1_
		.amdhsa_group_segment_fixed_size 296
		.amdhsa_private_segment_fixed_size 0
		.amdhsa_kernarg_size 16
		.amdhsa_user_sgpr_count 6
		.amdhsa_user_sgpr_private_segment_buffer 1
		.amdhsa_user_sgpr_dispatch_ptr 0
		.amdhsa_user_sgpr_queue_ptr 0
		.amdhsa_user_sgpr_kernarg_segment_ptr 1
		.amdhsa_user_sgpr_dispatch_id 0
		.amdhsa_user_sgpr_flat_scratch_init 0
		.amdhsa_user_sgpr_kernarg_preload_length 0
		.amdhsa_user_sgpr_kernarg_preload_offset 0
		.amdhsa_user_sgpr_private_segment_size 0
		.amdhsa_uses_dynamic_stack 0
		.amdhsa_system_sgpr_private_segment_wavefront_offset 0
		.amdhsa_system_sgpr_workgroup_id_x 1
		.amdhsa_system_sgpr_workgroup_id_y 0
		.amdhsa_system_sgpr_workgroup_id_z 0
		.amdhsa_system_sgpr_workgroup_info 0
		.amdhsa_system_vgpr_workitem_id 0
		.amdhsa_next_free_vgpr 4
		.amdhsa_next_free_sgpr 12
		.amdhsa_accum_offset 4
		.amdhsa_reserve_vcc 1
		.amdhsa_reserve_flat_scratch 0
		.amdhsa_float_round_mode_32 0
		.amdhsa_float_round_mode_16_64 0
		.amdhsa_float_denorm_mode_32 3
		.amdhsa_float_denorm_mode_16_64 3
		.amdhsa_dx10_clamp 1
		.amdhsa_ieee_mode 1
		.amdhsa_fp16_overflow 0
		.amdhsa_tg_split 0
		.amdhsa_exception_fp_ieee_invalid_op 0
		.amdhsa_exception_fp_denorm_src 0
		.amdhsa_exception_fp_ieee_div_zero 0
		.amdhsa_exception_fp_ieee_overflow 0
		.amdhsa_exception_fp_ieee_underflow 0
		.amdhsa_exception_fp_ieee_inexact 0
		.amdhsa_exception_int_div_zero 0
	.end_amdhsa_kernel
	.section	.text._Z20subtract_left_kernelIfiiN6hipcub3SumELj37ELj1EEvPKT_PT1_,"axG",@progbits,_Z20subtract_left_kernelIfiiN6hipcub3SumELj37ELj1EEvPKT_PT1_,comdat
.Lfunc_end83:
	.size	_Z20subtract_left_kernelIfiiN6hipcub3SumELj37ELj1EEvPKT_PT1_, .Lfunc_end83-_Z20subtract_left_kernelIfiiN6hipcub3SumELj37ELj1EEvPKT_PT1_
                                        ; -- End function
	.section	.AMDGPU.csdata,"",@progbits
; Kernel info:
; codeLenInByte = 228
; NumSgprs: 16
; NumVgprs: 4
; NumAgprs: 0
; TotalNumVgprs: 4
; ScratchSize: 0
; MemoryBound: 0
; FloatMode: 240
; IeeeMode: 1
; LDSByteSize: 296 bytes/workgroup (compile time only)
; SGPRBlocks: 1
; VGPRBlocks: 0
; NumSGPRsForWavesPerEU: 16
; NumVGPRsForWavesPerEU: 4
; AccumOffset: 4
; Occupancy: 8
; WaveLimiterHint : 0
; COMPUTE_PGM_RSRC2:SCRATCH_EN: 0
; COMPUTE_PGM_RSRC2:USER_SGPR: 6
; COMPUTE_PGM_RSRC2:TRAP_HANDLER: 0
; COMPUTE_PGM_RSRC2:TGID_X_EN: 1
; COMPUTE_PGM_RSRC2:TGID_Y_EN: 0
; COMPUTE_PGM_RSRC2:TGID_Z_EN: 0
; COMPUTE_PGM_RSRC2:TIDIG_COMP_CNT: 0
; COMPUTE_PGM_RSRC3_GFX90A:ACCUM_OFFSET: 0
; COMPUTE_PGM_RSRC3_GFX90A:TG_SPLIT: 0
	.section	.text._Z20subtract_left_kernelIibi10custom_op1Lj256ELj1EEvPKT_PT1_,"axG",@progbits,_Z20subtract_left_kernelIibi10custom_op1Lj256ELj1EEvPKT_PT1_,comdat
	.protected	_Z20subtract_left_kernelIibi10custom_op1Lj256ELj1EEvPKT_PT1_ ; -- Begin function _Z20subtract_left_kernelIibi10custom_op1Lj256ELj1EEvPKT_PT1_
	.globl	_Z20subtract_left_kernelIibi10custom_op1Lj256ELj1EEvPKT_PT1_
	.p2align	8
	.type	_Z20subtract_left_kernelIibi10custom_op1Lj256ELj1EEvPKT_PT1_,@function
_Z20subtract_left_kernelIibi10custom_op1Lj256ELj1EEvPKT_PT1_: ; @_Z20subtract_left_kernelIibi10custom_op1Lj256ELj1EEvPKT_PT1_
; %bb.0:
	s_load_dwordx4 s[8:11], s[4:5], 0x0
	s_lshl_b32 s4, s6, 8
	s_mov_b32 s5, 0
	s_lshl_b64 s[2:3], s[4:5], 2
	v_lshlrev_b32_e32 v1, 2, v0
	s_waitcnt lgkmcnt(0)
	s_add_u32 s0, s8, s2
	s_addc_u32 s1, s9, s3
	global_load_dword v2, v1, s[0:1]
	s_bitcmp0_b32 s6, 0
	v_cmp_ne_u32_e64 s[0:1], 0, v0
	s_cbranch_scc1 .LBB84_2
; %bb.1:
	s_add_i32 s4, s4, -1
	s_lshl_b64 s[4:5], s[4:5], 2
	s_add_u32 s4, s8, s4
	s_addc_u32 s5, s9, s5
	s_load_dword s8, s[4:5], 0x0
	s_and_b64 s[4:5], s[0:1], exec
	s_waitcnt vmcnt(0)
	ds_write_b32 v1, v2
	s_waitcnt lgkmcnt(0)
	s_barrier
	s_cbranch_execz .LBB84_3
	s_branch .LBB84_4
.LBB84_2:
	s_mov_b64 s[4:5], 0
                                        ; implicit-def: $sgpr8
.LBB84_3:
	s_andn2_b64 s[4:5], s[4:5], exec
	s_and_b64 s[0:1], s[0:1], exec
	s_mov_b32 s8, 0
	s_or_b64 s[4:5], s[4:5], s[0:1]
	s_waitcnt vmcnt(0)
	ds_write_b32 v1, v2
	s_waitcnt lgkmcnt(0)
	s_barrier
.LBB84_4:
	v_mov_b32_e32 v3, s8
	s_and_saveexec_b64 s[0:1], s[4:5]
	s_cbranch_execz .LBB84_6
; %bb.5:
	v_lshl_add_u32 v0, v0, 2, -4
	ds_read_b32 v3, v0
.LBB84_6:
	s_or_b64 exec, exec, s[0:1]
	s_add_u32 s0, s10, s2
	s_waitcnt vmcnt(0) lgkmcnt(0)
	v_cmp_ne_u32_e32 vcc, v2, v3
	s_addc_u32 s1, s11, s3
	v_cndmask_b32_e64 v0, 0, 1, vcc
	global_store_dword v1, v0, s[0:1]
	s_endpgm
	.section	.rodata,"a",@progbits
	.p2align	6, 0x0
	.amdhsa_kernel _Z20subtract_left_kernelIibi10custom_op1Lj256ELj1EEvPKT_PT1_
		.amdhsa_group_segment_fixed_size 2048
		.amdhsa_private_segment_fixed_size 0
		.amdhsa_kernarg_size 16
		.amdhsa_user_sgpr_count 6
		.amdhsa_user_sgpr_private_segment_buffer 1
		.amdhsa_user_sgpr_dispatch_ptr 0
		.amdhsa_user_sgpr_queue_ptr 0
		.amdhsa_user_sgpr_kernarg_segment_ptr 1
		.amdhsa_user_sgpr_dispatch_id 0
		.amdhsa_user_sgpr_flat_scratch_init 0
		.amdhsa_user_sgpr_kernarg_preload_length 0
		.amdhsa_user_sgpr_kernarg_preload_offset 0
		.amdhsa_user_sgpr_private_segment_size 0
		.amdhsa_uses_dynamic_stack 0
		.amdhsa_system_sgpr_private_segment_wavefront_offset 0
		.amdhsa_system_sgpr_workgroup_id_x 1
		.amdhsa_system_sgpr_workgroup_id_y 0
		.amdhsa_system_sgpr_workgroup_id_z 0
		.amdhsa_system_sgpr_workgroup_info 0
		.amdhsa_system_vgpr_workitem_id 0
		.amdhsa_next_free_vgpr 4
		.amdhsa_next_free_sgpr 12
		.amdhsa_accum_offset 4
		.amdhsa_reserve_vcc 1
		.amdhsa_reserve_flat_scratch 0
		.amdhsa_float_round_mode_32 0
		.amdhsa_float_round_mode_16_64 0
		.amdhsa_float_denorm_mode_32 3
		.amdhsa_float_denorm_mode_16_64 3
		.amdhsa_dx10_clamp 1
		.amdhsa_ieee_mode 1
		.amdhsa_fp16_overflow 0
		.amdhsa_tg_split 0
		.amdhsa_exception_fp_ieee_invalid_op 0
		.amdhsa_exception_fp_denorm_src 0
		.amdhsa_exception_fp_ieee_div_zero 0
		.amdhsa_exception_fp_ieee_overflow 0
		.amdhsa_exception_fp_ieee_underflow 0
		.amdhsa_exception_fp_ieee_inexact 0
		.amdhsa_exception_int_div_zero 0
	.end_amdhsa_kernel
	.section	.text._Z20subtract_left_kernelIibi10custom_op1Lj256ELj1EEvPKT_PT1_,"axG",@progbits,_Z20subtract_left_kernelIibi10custom_op1Lj256ELj1EEvPKT_PT1_,comdat
.Lfunc_end84:
	.size	_Z20subtract_left_kernelIibi10custom_op1Lj256ELj1EEvPKT_PT1_, .Lfunc_end84-_Z20subtract_left_kernelIibi10custom_op1Lj256ELj1EEvPKT_PT1_
                                        ; -- End function
	.section	.AMDGPU.csdata,"",@progbits
; Kernel info:
; codeLenInByte = 224
; NumSgprs: 16
; NumVgprs: 4
; NumAgprs: 0
; TotalNumVgprs: 4
; ScratchSize: 0
; MemoryBound: 0
; FloatMode: 240
; IeeeMode: 1
; LDSByteSize: 2048 bytes/workgroup (compile time only)
; SGPRBlocks: 1
; VGPRBlocks: 0
; NumSGPRsForWavesPerEU: 16
; NumVGPRsForWavesPerEU: 4
; AccumOffset: 4
; Occupancy: 8
; WaveLimiterHint : 0
; COMPUTE_PGM_RSRC2:SCRATCH_EN: 0
; COMPUTE_PGM_RSRC2:USER_SGPR: 6
; COMPUTE_PGM_RSRC2:TRAP_HANDLER: 0
; COMPUTE_PGM_RSRC2:TGID_X_EN: 1
; COMPUTE_PGM_RSRC2:TGID_Y_EN: 0
; COMPUTE_PGM_RSRC2:TGID_Z_EN: 0
; COMPUTE_PGM_RSRC2:TIDIG_COMP_CNT: 0
; COMPUTE_PGM_RSRC3_GFX90A:ACCUM_OFFSET: 0
; COMPUTE_PGM_RSRC3_GFX90A:TG_SPLIT: 0
	.section	.text._Z20subtract_left_kernelI12hip_bfloat16ii10custom_op2Lj256ELj1EEvPKT_PT1_,"axG",@progbits,_Z20subtract_left_kernelI12hip_bfloat16ii10custom_op2Lj256ELj1EEvPKT_PT1_,comdat
	.protected	_Z20subtract_left_kernelI12hip_bfloat16ii10custom_op2Lj256ELj1EEvPKT_PT1_ ; -- Begin function _Z20subtract_left_kernelI12hip_bfloat16ii10custom_op2Lj256ELj1EEvPKT_PT1_
	.globl	_Z20subtract_left_kernelI12hip_bfloat16ii10custom_op2Lj256ELj1EEvPKT_PT1_
	.p2align	8
	.type	_Z20subtract_left_kernelI12hip_bfloat16ii10custom_op2Lj256ELj1EEvPKT_PT1_,@function
_Z20subtract_left_kernelI12hip_bfloat16ii10custom_op2Lj256ELj1EEvPKT_PT1_: ; @_Z20subtract_left_kernelI12hip_bfloat16ii10custom_op2Lj256ELj1EEvPKT_PT1_
; %bb.0:
	s_load_dwordx4 s[0:3], s[4:5], 0x0
	s_lshl_b32 s4, s6, 8
	s_mov_b32 s5, 0
	s_lshl_b64 s[8:9], s[4:5], 1
	v_lshlrev_b32_e32 v1, 1, v0
	s_waitcnt lgkmcnt(0)
	s_add_u32 s8, s0, s8
	s_addc_u32 s9, s1, s9
	global_load_ushort v2, v1, s[8:9]
	s_bitcmp0_b32 s6, 0
	v_cmp_ne_u32_e32 vcc, 0, v0
	s_cbranch_scc1 .LBB85_12
; %bb.1:
	s_add_i32 s6, s4, -1
	s_mov_b32 s7, s5
	s_lshl_b64 s[6:7], s[6:7], 1
	s_add_u32 s0, s0, s6
	s_addc_u32 s1, s1, s7
	v_mov_b32_e32 v3, 0
	global_load_ushort v3, v3, s[0:1]
	s_waitcnt vmcnt(1)
	ds_write_b16 v1, v2
	s_waitcnt lgkmcnt(0)
	s_barrier
	s_and_saveexec_b64 s[0:1], vcc
	s_cbranch_execz .LBB85_3
; %bb.2:
	s_waitcnt vmcnt(0)
	v_add_u32_e32 v3, -2, v1
	ds_read_u16 v3, v3
.LBB85_3:
	s_or_b64 exec, exec, s[0:1]
	s_waitcnt vmcnt(0) lgkmcnt(0)
	v_lshlrev_b32_e32 v3, 16, v3
	v_add_f32_e32 v3, v3, v3
	s_mov_b32 s0, 0x7f800000
	v_and_b32_e32 v4, 0x7f800000, v3
	v_cmp_ne_u32_e32 vcc, s0, v4
                                        ; implicit-def: $vgpr4
	s_and_saveexec_b64 s[0:1], vcc
	s_xor_b64 s[0:1], exec, s[0:1]
; %bb.4:
	v_bfe_u32 v4, v3, 16, 1
	s_movk_i32 s6, 0x7fff
	v_add3_u32 v4, v3, v4, s6
                                        ; implicit-def: $vgpr3
; %bb.5:
	s_andn2_saveexec_b64 s[0:1], s[0:1]
; %bb.6:
	v_mov_b32_e32 v4, 0
	v_or_b32_e32 v5, 0x10000, v3
	v_cmp_eq_u32_sdwa vcc, v3, v4 src0_sel:WORD_0 src1_sel:DWORD
	v_cndmask_b32_e32 v4, v5, v3, vcc
; %bb.7:
	s_or_b64 exec, exec, s[0:1]
	v_and_b32_e32 v3, 0xffff0000, v4
	v_lshlrev_b32_e32 v4, 16, v2
	v_sub_f32_e32 v3, v3, v4
	s_mov_b32 s0, 0x7f800000
	v_and_b32_e32 v4, 0x7f800000, v3
	v_cmp_ne_u32_e32 vcc, s0, v4
                                        ; implicit-def: $vgpr4
	s_and_saveexec_b64 s[0:1], vcc
	s_xor_b64 s[0:1], exec, s[0:1]
; %bb.8:
	v_bfe_u32 v4, v3, 16, 1
	s_movk_i32 s6, 0x7fff
	v_add3_u32 v4, v3, v4, s6
                                        ; implicit-def: $vgpr3
; %bb.9:
	s_andn2_saveexec_b64 s[0:1], s[0:1]
; %bb.10:
	v_mov_b32_e32 v4, 0
	v_or_b32_e32 v5, 0x10000, v3
	v_cmp_eq_u32_sdwa vcc, v3, v4 src0_sel:WORD_0 src1_sel:DWORD
	v_cndmask_b32_e32 v4, v5, v3, vcc
; %bb.11:
	s_or_b64 exec, exec, s[0:1]
	v_and_b32_e32 v3, 0xffff0000, v4
	s_branch .LBB85_24
.LBB85_12:
                                        ; implicit-def: $vgpr3
	s_cbranch_execz .LBB85_24
; %bb.13:
	s_waitcnt vmcnt(0)
	v_lshlrev_b32_e32 v3, 16, v2
	v_cmp_ne_u32_e32 vcc, 0, v0
	ds_write_b16 v1, v2
	s_waitcnt lgkmcnt(0)
	s_barrier
	s_and_saveexec_b64 s[0:1], vcc
	s_cbranch_execz .LBB85_23
; %bb.14:
	v_add_u32_e32 v1, -2, v1
	ds_read_u16 v1, v1
	s_mov_b32 s6, 0x7f800000
	s_waitcnt lgkmcnt(0)
	v_lshlrev_b32_e32 v1, 16, v1
	v_add_f32_e32 v1, v1, v1
	v_and_b32_e32 v2, 0x7f800000, v1
	v_cmp_ne_u32_e32 vcc, s6, v2
                                        ; implicit-def: $vgpr2
	s_and_saveexec_b64 s[6:7], vcc
	s_xor_b64 s[6:7], exec, s[6:7]
; %bb.15:
	v_bfe_u32 v2, v1, 16, 1
	s_movk_i32 s8, 0x7fff
	v_add3_u32 v2, v1, v2, s8
                                        ; implicit-def: $vgpr1
; %bb.16:
	s_andn2_saveexec_b64 s[6:7], s[6:7]
; %bb.17:
	v_mov_b32_e32 v2, 0
	v_or_b32_e32 v4, 0x10000, v1
	v_cmp_eq_u32_sdwa vcc, v1, v2 src0_sel:WORD_0 src1_sel:DWORD
	v_cndmask_b32_e32 v2, v4, v1, vcc
; %bb.18:
	s_or_b64 exec, exec, s[6:7]
	v_and_b32_e32 v1, 0xffff0000, v2
	v_sub_f32_e32 v1, v1, v3
	s_mov_b32 s6, 0x7f800000
	v_and_b32_e32 v2, 0x7f800000, v1
	v_cmp_ne_u32_e32 vcc, s6, v2
                                        ; implicit-def: $vgpr2
	s_and_saveexec_b64 s[6:7], vcc
	s_xor_b64 s[6:7], exec, s[6:7]
; %bb.19:
	v_bfe_u32 v2, v1, 16, 1
	s_movk_i32 s8, 0x7fff
	v_add3_u32 v2, v1, v2, s8
                                        ; implicit-def: $vgpr1
; %bb.20:
	s_andn2_saveexec_b64 s[6:7], s[6:7]
; %bb.21:
	v_mov_b32_e32 v2, 0
	v_or_b32_e32 v3, 0x10000, v1
	v_cmp_eq_u32_sdwa vcc, v1, v2 src0_sel:WORD_0 src1_sel:DWORD
	v_cndmask_b32_e32 v2, v3, v1, vcc
; %bb.22:
	s_or_b64 exec, exec, s[6:7]
	v_and_b32_e32 v3, 0xffff0000, v2
.LBB85_23:
	s_or_b64 exec, exec, s[0:1]
.LBB85_24:
	v_cvt_i32_f32_e32 v1, v3
	s_lshl_b64 s[0:1], s[4:5], 2
	s_add_u32 s0, s2, s0
	s_addc_u32 s1, s3, s1
	v_lshlrev_b32_e32 v0, 2, v0
	global_store_dword v0, v1, s[0:1]
	s_endpgm
	.section	.rodata,"a",@progbits
	.p2align	6, 0x0
	.amdhsa_kernel _Z20subtract_left_kernelI12hip_bfloat16ii10custom_op2Lj256ELj1EEvPKT_PT1_
		.amdhsa_group_segment_fixed_size 1024
		.amdhsa_private_segment_fixed_size 0
		.amdhsa_kernarg_size 16
		.amdhsa_user_sgpr_count 6
		.amdhsa_user_sgpr_private_segment_buffer 1
		.amdhsa_user_sgpr_dispatch_ptr 0
		.amdhsa_user_sgpr_queue_ptr 0
		.amdhsa_user_sgpr_kernarg_segment_ptr 1
		.amdhsa_user_sgpr_dispatch_id 0
		.amdhsa_user_sgpr_flat_scratch_init 0
		.amdhsa_user_sgpr_kernarg_preload_length 0
		.amdhsa_user_sgpr_kernarg_preload_offset 0
		.amdhsa_user_sgpr_private_segment_size 0
		.amdhsa_uses_dynamic_stack 0
		.amdhsa_system_sgpr_private_segment_wavefront_offset 0
		.amdhsa_system_sgpr_workgroup_id_x 1
		.amdhsa_system_sgpr_workgroup_id_y 0
		.amdhsa_system_sgpr_workgroup_id_z 0
		.amdhsa_system_sgpr_workgroup_info 0
		.amdhsa_system_vgpr_workitem_id 0
		.amdhsa_next_free_vgpr 6
		.amdhsa_next_free_sgpr 10
		.amdhsa_accum_offset 8
		.amdhsa_reserve_vcc 1
		.amdhsa_reserve_flat_scratch 0
		.amdhsa_float_round_mode_32 0
		.amdhsa_float_round_mode_16_64 0
		.amdhsa_float_denorm_mode_32 3
		.amdhsa_float_denorm_mode_16_64 3
		.amdhsa_dx10_clamp 1
		.amdhsa_ieee_mode 1
		.amdhsa_fp16_overflow 0
		.amdhsa_tg_split 0
		.amdhsa_exception_fp_ieee_invalid_op 0
		.amdhsa_exception_fp_denorm_src 0
		.amdhsa_exception_fp_ieee_div_zero 0
		.amdhsa_exception_fp_ieee_overflow 0
		.amdhsa_exception_fp_ieee_underflow 0
		.amdhsa_exception_fp_ieee_inexact 0
		.amdhsa_exception_int_div_zero 0
	.end_amdhsa_kernel
	.section	.text._Z20subtract_left_kernelI12hip_bfloat16ii10custom_op2Lj256ELj1EEvPKT_PT1_,"axG",@progbits,_Z20subtract_left_kernelI12hip_bfloat16ii10custom_op2Lj256ELj1EEvPKT_PT1_,comdat
.Lfunc_end85:
	.size	_Z20subtract_left_kernelI12hip_bfloat16ii10custom_op2Lj256ELj1EEvPKT_PT1_, .Lfunc_end85-_Z20subtract_left_kernelI12hip_bfloat16ii10custom_op2Lj256ELj1EEvPKT_PT1_
                                        ; -- End function
	.section	.AMDGPU.csdata,"",@progbits
; Kernel info:
; codeLenInByte = 616
; NumSgprs: 14
; NumVgprs: 6
; NumAgprs: 0
; TotalNumVgprs: 6
; ScratchSize: 0
; MemoryBound: 0
; FloatMode: 240
; IeeeMode: 1
; LDSByteSize: 1024 bytes/workgroup (compile time only)
; SGPRBlocks: 1
; VGPRBlocks: 0
; NumSGPRsForWavesPerEU: 14
; NumVGPRsForWavesPerEU: 6
; AccumOffset: 8
; Occupancy: 8
; WaveLimiterHint : 0
; COMPUTE_PGM_RSRC2:SCRATCH_EN: 0
; COMPUTE_PGM_RSRC2:USER_SGPR: 6
; COMPUTE_PGM_RSRC2:TRAP_HANDLER: 0
; COMPUTE_PGM_RSRC2:TGID_X_EN: 1
; COMPUTE_PGM_RSRC2:TGID_Y_EN: 0
; COMPUTE_PGM_RSRC2:TGID_Z_EN: 0
; COMPUTE_PGM_RSRC2:TIDIG_COMP_CNT: 0
; COMPUTE_PGM_RSRC3_GFX90A:ACCUM_OFFSET: 1
; COMPUTE_PGM_RSRC3_GFX90A:TG_SPLIT: 0
	.section	.text._Z20subtract_left_kernelI6__halfii10custom_op1Lj256ELj1EEvPKT_PT1_,"axG",@progbits,_Z20subtract_left_kernelI6__halfii10custom_op1Lj256ELj1EEvPKT_PT1_,comdat
	.protected	_Z20subtract_left_kernelI6__halfii10custom_op1Lj256ELj1EEvPKT_PT1_ ; -- Begin function _Z20subtract_left_kernelI6__halfii10custom_op1Lj256ELj1EEvPKT_PT1_
	.globl	_Z20subtract_left_kernelI6__halfii10custom_op1Lj256ELj1EEvPKT_PT1_
	.p2align	8
	.type	_Z20subtract_left_kernelI6__halfii10custom_op1Lj256ELj1EEvPKT_PT1_,@function
_Z20subtract_left_kernelI6__halfii10custom_op1Lj256ELj1EEvPKT_PT1_: ; @_Z20subtract_left_kernelI6__halfii10custom_op1Lj256ELj1EEvPKT_PT1_
; %bb.0:
	s_load_dwordx4 s[0:3], s[4:5], 0x0
	s_lshl_b32 s4, s6, 8
	s_mov_b32 s5, 0
	s_lshl_b64 s[8:9], s[4:5], 1
	v_lshlrev_b32_e32 v2, 1, v0
	s_waitcnt lgkmcnt(0)
	s_add_u32 s8, s0, s8
	s_addc_u32 s9, s1, s9
	global_load_ushort v1, v2, s[8:9]
	s_bitcmp0_b32 s6, 0
	v_cmp_ne_u32_e32 vcc, 0, v0
	s_cbranch_scc1 .LBB86_4
; %bb.1:
	s_add_i32 s6, s4, -1
	s_mov_b32 s7, s5
	s_lshl_b64 s[6:7], s[6:7], 1
	s_add_u32 s0, s0, s6
	s_addc_u32 s1, s1, s7
	v_mov_b32_e32 v3, 0
	global_load_ushort v3, v3, s[0:1]
	s_waitcnt vmcnt(1)
	ds_write_b16 v2, v1
	s_waitcnt lgkmcnt(0)
	s_barrier
	s_and_saveexec_b64 s[0:1], vcc
	s_cbranch_execz .LBB86_3
; %bb.2:
	s_waitcnt vmcnt(0)
	v_add_u32_e32 v3, -2, v2
	ds_read_u16 v3, v3
.LBB86_3:
	s_or_b64 exec, exec, s[0:1]
	s_waitcnt vmcnt(0) lgkmcnt(0)
	v_sub_f16_e32 v3, v1, v3
	s_branch .LBB86_8
.LBB86_4:
                                        ; implicit-def: $vgpr3
	s_cbranch_execz .LBB86_8
; %bb.5:
	v_cmp_ne_u32_e32 vcc, 0, v0
	s_waitcnt vmcnt(0)
	ds_write_b16 v2, v1
	s_waitcnt lgkmcnt(0)
	s_barrier
	s_and_saveexec_b64 s[0:1], vcc
	s_cbranch_execz .LBB86_7
; %bb.6:
	v_add_u32_e32 v2, -2, v2
	ds_read_u16 v2, v2
	s_waitcnt lgkmcnt(0)
	v_sub_f16_e32 v1, v1, v2
.LBB86_7:
	s_or_b64 exec, exec, s[0:1]
	v_mov_b32_e32 v3, v1
.LBB86_8:
	s_waitcnt vmcnt(0)
	v_cvt_f32_f16_e32 v1, v3
	s_lshl_b64 s[0:1], s[4:5], 2
	s_add_u32 s0, s2, s0
	s_addc_u32 s1, s3, s1
	v_cvt_i32_f32_e32 v1, v1
	v_lshlrev_b32_e32 v0, 2, v0
	global_store_dword v0, v1, s[0:1]
	s_endpgm
	.section	.rodata,"a",@progbits
	.p2align	6, 0x0
	.amdhsa_kernel _Z20subtract_left_kernelI6__halfii10custom_op1Lj256ELj1EEvPKT_PT1_
		.amdhsa_group_segment_fixed_size 1024
		.amdhsa_private_segment_fixed_size 0
		.amdhsa_kernarg_size 16
		.amdhsa_user_sgpr_count 6
		.amdhsa_user_sgpr_private_segment_buffer 1
		.amdhsa_user_sgpr_dispatch_ptr 0
		.amdhsa_user_sgpr_queue_ptr 0
		.amdhsa_user_sgpr_kernarg_segment_ptr 1
		.amdhsa_user_sgpr_dispatch_id 0
		.amdhsa_user_sgpr_flat_scratch_init 0
		.amdhsa_user_sgpr_kernarg_preload_length 0
		.amdhsa_user_sgpr_kernarg_preload_offset 0
		.amdhsa_user_sgpr_private_segment_size 0
		.amdhsa_uses_dynamic_stack 0
		.amdhsa_system_sgpr_private_segment_wavefront_offset 0
		.amdhsa_system_sgpr_workgroup_id_x 1
		.amdhsa_system_sgpr_workgroup_id_y 0
		.amdhsa_system_sgpr_workgroup_id_z 0
		.amdhsa_system_sgpr_workgroup_info 0
		.amdhsa_system_vgpr_workitem_id 0
		.amdhsa_next_free_vgpr 4
		.amdhsa_next_free_sgpr 10
		.amdhsa_accum_offset 4
		.amdhsa_reserve_vcc 1
		.amdhsa_reserve_flat_scratch 0
		.amdhsa_float_round_mode_32 0
		.amdhsa_float_round_mode_16_64 0
		.amdhsa_float_denorm_mode_32 3
		.amdhsa_float_denorm_mode_16_64 3
		.amdhsa_dx10_clamp 1
		.amdhsa_ieee_mode 1
		.amdhsa_fp16_overflow 0
		.amdhsa_tg_split 0
		.amdhsa_exception_fp_ieee_invalid_op 0
		.amdhsa_exception_fp_denorm_src 0
		.amdhsa_exception_fp_ieee_div_zero 0
		.amdhsa_exception_fp_ieee_overflow 0
		.amdhsa_exception_fp_ieee_underflow 0
		.amdhsa_exception_fp_ieee_inexact 0
		.amdhsa_exception_int_div_zero 0
	.end_amdhsa_kernel
	.section	.text._Z20subtract_left_kernelI6__halfii10custom_op1Lj256ELj1EEvPKT_PT1_,"axG",@progbits,_Z20subtract_left_kernelI6__halfii10custom_op1Lj256ELj1EEvPKT_PT1_,comdat
.Lfunc_end86:
	.size	_Z20subtract_left_kernelI6__halfii10custom_op1Lj256ELj1EEvPKT_PT1_, .Lfunc_end86-_Z20subtract_left_kernelI6__halfii10custom_op1Lj256ELj1EEvPKT_PT1_
                                        ; -- End function
	.section	.AMDGPU.csdata,"",@progbits
; Kernel info:
; codeLenInByte = 252
; NumSgprs: 14
; NumVgprs: 4
; NumAgprs: 0
; TotalNumVgprs: 4
; ScratchSize: 0
; MemoryBound: 0
; FloatMode: 240
; IeeeMode: 1
; LDSByteSize: 1024 bytes/workgroup (compile time only)
; SGPRBlocks: 1
; VGPRBlocks: 0
; NumSGPRsForWavesPerEU: 14
; NumVGPRsForWavesPerEU: 4
; AccumOffset: 4
; Occupancy: 8
; WaveLimiterHint : 0
; COMPUTE_PGM_RSRC2:SCRATCH_EN: 0
; COMPUTE_PGM_RSRC2:USER_SGPR: 6
; COMPUTE_PGM_RSRC2:TRAP_HANDLER: 0
; COMPUTE_PGM_RSRC2:TGID_X_EN: 1
; COMPUTE_PGM_RSRC2:TGID_Y_EN: 0
; COMPUTE_PGM_RSRC2:TGID_Z_EN: 0
; COMPUTE_PGM_RSRC2:TIDIG_COMP_CNT: 0
; COMPUTE_PGM_RSRC3_GFX90A:ACCUM_OFFSET: 0
; COMPUTE_PGM_RSRC3_GFX90A:TG_SPLIT: 0
	.section	.text._Z20subtract_left_kernelIfii10custom_op2Lj256ELj1EEvPKT_PT1_,"axG",@progbits,_Z20subtract_left_kernelIfii10custom_op2Lj256ELj1EEvPKT_PT1_,comdat
	.protected	_Z20subtract_left_kernelIfii10custom_op2Lj256ELj1EEvPKT_PT1_ ; -- Begin function _Z20subtract_left_kernelIfii10custom_op2Lj256ELj1EEvPKT_PT1_
	.globl	_Z20subtract_left_kernelIfii10custom_op2Lj256ELj1EEvPKT_PT1_
	.p2align	8
	.type	_Z20subtract_left_kernelIfii10custom_op2Lj256ELj1EEvPKT_PT1_,@function
_Z20subtract_left_kernelIfii10custom_op2Lj256ELj1EEvPKT_PT1_: ; @_Z20subtract_left_kernelIfii10custom_op2Lj256ELj1EEvPKT_PT1_
; %bb.0:
	s_load_dwordx4 s[0:3], s[4:5], 0x0
	s_lshl_b32 s8, s6, 8
	s_mov_b32 s9, 0
	s_lshl_b64 s[4:5], s[8:9], 2
	v_lshlrev_b32_e32 v1, 2, v0
	s_waitcnt lgkmcnt(0)
	s_add_u32 s10, s0, s4
	s_addc_u32 s11, s1, s5
	global_load_dword v2, v1, s[10:11]
	s_bitcmp0_b32 s6, 0
	v_cmp_ne_u32_e32 vcc, 0, v0
	s_cbranch_scc1 .LBB87_4
; %bb.1:
	s_add_i32 s8, s8, -1
	s_lshl_b64 s[6:7], s[8:9], 2
	s_add_u32 s0, s0, s6
	s_addc_u32 s1, s1, s7
	s_load_dword s0, s[0:1], 0x0
	s_waitcnt vmcnt(0)
	ds_write_b32 v1, v2
	s_waitcnt lgkmcnt(0)
	s_barrier
	v_mov_b32_e32 v3, s0
	s_and_saveexec_b64 s[0:1], vcc
	s_cbranch_execz .LBB87_3
; %bb.2:
	v_add_u32_e32 v3, -4, v1
	ds_read_b32 v3, v3
.LBB87_3:
	s_or_b64 exec, exec, s[0:1]
	s_waitcnt lgkmcnt(0)
	v_fma_f32 v3, v3, 2.0, -v2
	s_branch .LBB87_8
.LBB87_4:
                                        ; implicit-def: $vgpr3
	s_cbranch_execz .LBB87_8
; %bb.5:
	v_cmp_ne_u32_e32 vcc, 0, v0
	s_waitcnt vmcnt(0)
	ds_write_b32 v1, v2
	s_waitcnt lgkmcnt(0)
	s_barrier
	s_and_saveexec_b64 s[0:1], vcc
	s_cbranch_execz .LBB87_7
; %bb.6:
	v_add_u32_e32 v0, -4, v1
	ds_read_b32 v0, v0
	s_waitcnt lgkmcnt(0)
	v_fma_f32 v2, v0, 2.0, -v2
.LBB87_7:
	s_or_b64 exec, exec, s[0:1]
	v_mov_b32_e32 v3, v2
.LBB87_8:
	v_cvt_i32_f32_e32 v0, v3
	s_add_u32 s0, s2, s4
	s_addc_u32 s1, s3, s5
	global_store_dword v1, v0, s[0:1]
	s_endpgm
	.section	.rodata,"a",@progbits
	.p2align	6, 0x0
	.amdhsa_kernel _Z20subtract_left_kernelIfii10custom_op2Lj256ELj1EEvPKT_PT1_
		.amdhsa_group_segment_fixed_size 2048
		.amdhsa_private_segment_fixed_size 0
		.amdhsa_kernarg_size 16
		.amdhsa_user_sgpr_count 6
		.amdhsa_user_sgpr_private_segment_buffer 1
		.amdhsa_user_sgpr_dispatch_ptr 0
		.amdhsa_user_sgpr_queue_ptr 0
		.amdhsa_user_sgpr_kernarg_segment_ptr 1
		.amdhsa_user_sgpr_dispatch_id 0
		.amdhsa_user_sgpr_flat_scratch_init 0
		.amdhsa_user_sgpr_kernarg_preload_length 0
		.amdhsa_user_sgpr_kernarg_preload_offset 0
		.amdhsa_user_sgpr_private_segment_size 0
		.amdhsa_uses_dynamic_stack 0
		.amdhsa_system_sgpr_private_segment_wavefront_offset 0
		.amdhsa_system_sgpr_workgroup_id_x 1
		.amdhsa_system_sgpr_workgroup_id_y 0
		.amdhsa_system_sgpr_workgroup_id_z 0
		.amdhsa_system_sgpr_workgroup_info 0
		.amdhsa_system_vgpr_workitem_id 0
		.amdhsa_next_free_vgpr 4
		.amdhsa_next_free_sgpr 12
		.amdhsa_accum_offset 4
		.amdhsa_reserve_vcc 1
		.amdhsa_reserve_flat_scratch 0
		.amdhsa_float_round_mode_32 0
		.amdhsa_float_round_mode_16_64 0
		.amdhsa_float_denorm_mode_32 3
		.amdhsa_float_denorm_mode_16_64 3
		.amdhsa_dx10_clamp 1
		.amdhsa_ieee_mode 1
		.amdhsa_fp16_overflow 0
		.amdhsa_tg_split 0
		.amdhsa_exception_fp_ieee_invalid_op 0
		.amdhsa_exception_fp_denorm_src 0
		.amdhsa_exception_fp_ieee_div_zero 0
		.amdhsa_exception_fp_ieee_overflow 0
		.amdhsa_exception_fp_ieee_underflow 0
		.amdhsa_exception_fp_ieee_inexact 0
		.amdhsa_exception_int_div_zero 0
	.end_amdhsa_kernel
	.section	.text._Z20subtract_left_kernelIfii10custom_op2Lj256ELj1EEvPKT_PT1_,"axG",@progbits,_Z20subtract_left_kernelIfii10custom_op2Lj256ELj1EEvPKT_PT1_,comdat
.Lfunc_end87:
	.size	_Z20subtract_left_kernelIfii10custom_op2Lj256ELj1EEvPKT_PT1_, .Lfunc_end87-_Z20subtract_left_kernelIfii10custom_op2Lj256ELj1EEvPKT_PT1_
                                        ; -- End function
	.section	.AMDGPU.csdata,"",@progbits
; Kernel info:
; codeLenInByte = 236
; NumSgprs: 16
; NumVgprs: 4
; NumAgprs: 0
; TotalNumVgprs: 4
; ScratchSize: 0
; MemoryBound: 0
; FloatMode: 240
; IeeeMode: 1
; LDSByteSize: 2048 bytes/workgroup (compile time only)
; SGPRBlocks: 1
; VGPRBlocks: 0
; NumSGPRsForWavesPerEU: 16
; NumVGPRsForWavesPerEU: 4
; AccumOffset: 4
; Occupancy: 8
; WaveLimiterHint : 0
; COMPUTE_PGM_RSRC2:SCRATCH_EN: 0
; COMPUTE_PGM_RSRC2:USER_SGPR: 6
; COMPUTE_PGM_RSRC2:TRAP_HANDLER: 0
; COMPUTE_PGM_RSRC2:TGID_X_EN: 1
; COMPUTE_PGM_RSRC2:TGID_Y_EN: 0
; COMPUTE_PGM_RSRC2:TGID_Z_EN: 0
; COMPUTE_PGM_RSRC2:TIDIG_COMP_CNT: 0
; COMPUTE_PGM_RSRC3_GFX90A:ACCUM_OFFSET: 0
; COMPUTE_PGM_RSRC3_GFX90A:TG_SPLIT: 0
	.section	.text._Z20subtract_left_kernelIibi10custom_op1Lj128ELj1EEvPKT_PT1_,"axG",@progbits,_Z20subtract_left_kernelIibi10custom_op1Lj128ELj1EEvPKT_PT1_,comdat
	.protected	_Z20subtract_left_kernelIibi10custom_op1Lj128ELj1EEvPKT_PT1_ ; -- Begin function _Z20subtract_left_kernelIibi10custom_op1Lj128ELj1EEvPKT_PT1_
	.globl	_Z20subtract_left_kernelIibi10custom_op1Lj128ELj1EEvPKT_PT1_
	.p2align	8
	.type	_Z20subtract_left_kernelIibi10custom_op1Lj128ELj1EEvPKT_PT1_,@function
_Z20subtract_left_kernelIibi10custom_op1Lj128ELj1EEvPKT_PT1_: ; @_Z20subtract_left_kernelIibi10custom_op1Lj128ELj1EEvPKT_PT1_
; %bb.0:
	s_load_dwordx4 s[8:11], s[4:5], 0x0
	s_lshl_b32 s4, s6, 7
	s_mov_b32 s5, 0
	s_lshl_b64 s[2:3], s[4:5], 2
	v_lshlrev_b32_e32 v1, 2, v0
	s_waitcnt lgkmcnt(0)
	s_add_u32 s0, s8, s2
	s_addc_u32 s1, s9, s3
	global_load_dword v2, v1, s[0:1]
	s_bitcmp0_b32 s6, 0
	v_cmp_ne_u32_e64 s[0:1], 0, v0
	s_cbranch_scc1 .LBB88_2
; %bb.1:
	s_add_i32 s4, s4, -1
	s_lshl_b64 s[4:5], s[4:5], 2
	s_add_u32 s4, s8, s4
	s_addc_u32 s5, s9, s5
	s_load_dword s8, s[4:5], 0x0
	s_and_b64 s[4:5], s[0:1], exec
	s_waitcnt vmcnt(0)
	ds_write_b32 v1, v2
	s_waitcnt lgkmcnt(0)
	s_barrier
	s_cbranch_execz .LBB88_3
	s_branch .LBB88_4
.LBB88_2:
	s_mov_b64 s[4:5], 0
                                        ; implicit-def: $sgpr8
.LBB88_3:
	s_andn2_b64 s[4:5], s[4:5], exec
	s_and_b64 s[0:1], s[0:1], exec
	s_mov_b32 s8, 0
	s_or_b64 s[4:5], s[4:5], s[0:1]
	s_waitcnt vmcnt(0)
	ds_write_b32 v1, v2
	s_waitcnt lgkmcnt(0)
	s_barrier
.LBB88_4:
	v_mov_b32_e32 v3, s8
	s_and_saveexec_b64 s[0:1], s[4:5]
	s_cbranch_execz .LBB88_6
; %bb.5:
	v_lshl_add_u32 v0, v0, 2, -4
	ds_read_b32 v3, v0
.LBB88_6:
	s_or_b64 exec, exec, s[0:1]
	s_add_u32 s0, s10, s2
	s_waitcnt vmcnt(0) lgkmcnt(0)
	v_cmp_ne_u32_e32 vcc, v2, v3
	s_addc_u32 s1, s11, s3
	v_cndmask_b32_e64 v0, 0, 1, vcc
	global_store_dword v1, v0, s[0:1]
	s_endpgm
	.section	.rodata,"a",@progbits
	.p2align	6, 0x0
	.amdhsa_kernel _Z20subtract_left_kernelIibi10custom_op1Lj128ELj1EEvPKT_PT1_
		.amdhsa_group_segment_fixed_size 1024
		.amdhsa_private_segment_fixed_size 0
		.amdhsa_kernarg_size 16
		.amdhsa_user_sgpr_count 6
		.amdhsa_user_sgpr_private_segment_buffer 1
		.amdhsa_user_sgpr_dispatch_ptr 0
		.amdhsa_user_sgpr_queue_ptr 0
		.amdhsa_user_sgpr_kernarg_segment_ptr 1
		.amdhsa_user_sgpr_dispatch_id 0
		.amdhsa_user_sgpr_flat_scratch_init 0
		.amdhsa_user_sgpr_kernarg_preload_length 0
		.amdhsa_user_sgpr_kernarg_preload_offset 0
		.amdhsa_user_sgpr_private_segment_size 0
		.amdhsa_uses_dynamic_stack 0
		.amdhsa_system_sgpr_private_segment_wavefront_offset 0
		.amdhsa_system_sgpr_workgroup_id_x 1
		.amdhsa_system_sgpr_workgroup_id_y 0
		.amdhsa_system_sgpr_workgroup_id_z 0
		.amdhsa_system_sgpr_workgroup_info 0
		.amdhsa_system_vgpr_workitem_id 0
		.amdhsa_next_free_vgpr 4
		.amdhsa_next_free_sgpr 12
		.amdhsa_accum_offset 4
		.amdhsa_reserve_vcc 1
		.amdhsa_reserve_flat_scratch 0
		.amdhsa_float_round_mode_32 0
		.amdhsa_float_round_mode_16_64 0
		.amdhsa_float_denorm_mode_32 3
		.amdhsa_float_denorm_mode_16_64 3
		.amdhsa_dx10_clamp 1
		.amdhsa_ieee_mode 1
		.amdhsa_fp16_overflow 0
		.amdhsa_tg_split 0
		.amdhsa_exception_fp_ieee_invalid_op 0
		.amdhsa_exception_fp_denorm_src 0
		.amdhsa_exception_fp_ieee_div_zero 0
		.amdhsa_exception_fp_ieee_overflow 0
		.amdhsa_exception_fp_ieee_underflow 0
		.amdhsa_exception_fp_ieee_inexact 0
		.amdhsa_exception_int_div_zero 0
	.end_amdhsa_kernel
	.section	.text._Z20subtract_left_kernelIibi10custom_op1Lj128ELj1EEvPKT_PT1_,"axG",@progbits,_Z20subtract_left_kernelIibi10custom_op1Lj128ELj1EEvPKT_PT1_,comdat
.Lfunc_end88:
	.size	_Z20subtract_left_kernelIibi10custom_op1Lj128ELj1EEvPKT_PT1_, .Lfunc_end88-_Z20subtract_left_kernelIibi10custom_op1Lj128ELj1EEvPKT_PT1_
                                        ; -- End function
	.section	.AMDGPU.csdata,"",@progbits
; Kernel info:
; codeLenInByte = 224
; NumSgprs: 16
; NumVgprs: 4
; NumAgprs: 0
; TotalNumVgprs: 4
; ScratchSize: 0
; MemoryBound: 0
; FloatMode: 240
; IeeeMode: 1
; LDSByteSize: 1024 bytes/workgroup (compile time only)
; SGPRBlocks: 1
; VGPRBlocks: 0
; NumSGPRsForWavesPerEU: 16
; NumVGPRsForWavesPerEU: 4
; AccumOffset: 4
; Occupancy: 8
; WaveLimiterHint : 0
; COMPUTE_PGM_RSRC2:SCRATCH_EN: 0
; COMPUTE_PGM_RSRC2:USER_SGPR: 6
; COMPUTE_PGM_RSRC2:TRAP_HANDLER: 0
; COMPUTE_PGM_RSRC2:TGID_X_EN: 1
; COMPUTE_PGM_RSRC2:TGID_Y_EN: 0
; COMPUTE_PGM_RSRC2:TGID_Z_EN: 0
; COMPUTE_PGM_RSRC2:TIDIG_COMP_CNT: 0
; COMPUTE_PGM_RSRC3_GFX90A:ACCUM_OFFSET: 0
; COMPUTE_PGM_RSRC3_GFX90A:TG_SPLIT: 0
	.section	.text._Z20subtract_left_kernelIjiiN6hipcub3SumELj64ELj1EEvPKT_PT1_,"axG",@progbits,_Z20subtract_left_kernelIjiiN6hipcub3SumELj64ELj1EEvPKT_PT1_,comdat
	.protected	_Z20subtract_left_kernelIjiiN6hipcub3SumELj64ELj1EEvPKT_PT1_ ; -- Begin function _Z20subtract_left_kernelIjiiN6hipcub3SumELj64ELj1EEvPKT_PT1_
	.globl	_Z20subtract_left_kernelIjiiN6hipcub3SumELj64ELj1EEvPKT_PT1_
	.p2align	8
	.type	_Z20subtract_left_kernelIjiiN6hipcub3SumELj64ELj1EEvPKT_PT1_,@function
_Z20subtract_left_kernelIjiiN6hipcub3SumELj64ELj1EEvPKT_PT1_: ; @_Z20subtract_left_kernelIjiiN6hipcub3SumELj64ELj1EEvPKT_PT1_
; %bb.0:
	s_load_dwordx4 s[0:3], s[4:5], 0x0
	s_lshl_b32 s8, s6, 6
	s_mov_b32 s9, 0
	s_lshl_b64 s[4:5], s[8:9], 2
	v_lshlrev_b32_e32 v1, 2, v0
	s_waitcnt lgkmcnt(0)
	s_add_u32 s10, s0, s4
	s_addc_u32 s11, s1, s5
	global_load_dword v2, v1, s[10:11]
	s_bitcmp0_b32 s6, 0
	v_cmp_ne_u32_e32 vcc, 0, v0
	s_cbranch_scc1 .LBB89_5
; %bb.1:
	s_add_i32 s8, s8, -1
	s_lshl_b64 s[6:7], s[8:9], 2
	s_add_u32 s0, s0, s6
	s_addc_u32 s1, s1, s7
	s_load_dword s0, s[0:1], 0x0
	s_waitcnt vmcnt(0)
	ds_write_b32 v1, v2
	s_waitcnt lgkmcnt(0)
	; wave barrier
	s_waitcnt lgkmcnt(0)
	v_mov_b32_e32 v3, s0
	s_and_saveexec_b64 s[0:1], vcc
	s_cbranch_execz .LBB89_3
; %bb.2:
	v_add_u32_e32 v3, -4, v1
	ds_read_b32 v3, v3
.LBB89_3:
	s_or_b64 exec, exec, s[0:1]
	s_waitcnt lgkmcnt(0)
	v_add_u32_e32 v3, v3, v2
.LBB89_4:
	s_add_u32 s0, s2, s4
	s_addc_u32 s1, s3, s5
	global_store_dword v1, v3, s[0:1]
	s_endpgm
.LBB89_5:
                                        ; implicit-def: $vgpr3
	s_cbranch_execz .LBB89_4
; %bb.6:
	v_cmp_ne_u32_e32 vcc, 0, v0
	s_waitcnt vmcnt(0)
	ds_write_b32 v1, v2
	s_waitcnt lgkmcnt(0)
	; wave barrier
	s_waitcnt lgkmcnt(0)
	s_and_saveexec_b64 s[0:1], vcc
	s_cbranch_execz .LBB89_8
; %bb.7:
	v_add_u32_e32 v0, -4, v1
	ds_read_b32 v0, v0
	s_waitcnt lgkmcnt(0)
	v_add_u32_e32 v2, v0, v2
.LBB89_8:
	s_or_b64 exec, exec, s[0:1]
	v_mov_b32_e32 v3, v2
	s_add_u32 s0, s2, s4
	s_addc_u32 s1, s3, s5
	global_store_dword v1, v3, s[0:1]
	s_endpgm
	.section	.rodata,"a",@progbits
	.p2align	6, 0x0
	.amdhsa_kernel _Z20subtract_left_kernelIjiiN6hipcub3SumELj64ELj1EEvPKT_PT1_
		.amdhsa_group_segment_fixed_size 512
		.amdhsa_private_segment_fixed_size 0
		.amdhsa_kernarg_size 16
		.amdhsa_user_sgpr_count 6
		.amdhsa_user_sgpr_private_segment_buffer 1
		.amdhsa_user_sgpr_dispatch_ptr 0
		.amdhsa_user_sgpr_queue_ptr 0
		.amdhsa_user_sgpr_kernarg_segment_ptr 1
		.amdhsa_user_sgpr_dispatch_id 0
		.amdhsa_user_sgpr_flat_scratch_init 0
		.amdhsa_user_sgpr_kernarg_preload_length 0
		.amdhsa_user_sgpr_kernarg_preload_offset 0
		.amdhsa_user_sgpr_private_segment_size 0
		.amdhsa_uses_dynamic_stack 0
		.amdhsa_system_sgpr_private_segment_wavefront_offset 0
		.amdhsa_system_sgpr_workgroup_id_x 1
		.amdhsa_system_sgpr_workgroup_id_y 0
		.amdhsa_system_sgpr_workgroup_id_z 0
		.amdhsa_system_sgpr_workgroup_info 0
		.amdhsa_system_vgpr_workitem_id 0
		.amdhsa_next_free_vgpr 4
		.amdhsa_next_free_sgpr 12
		.amdhsa_accum_offset 4
		.amdhsa_reserve_vcc 1
		.amdhsa_reserve_flat_scratch 0
		.amdhsa_float_round_mode_32 0
		.amdhsa_float_round_mode_16_64 0
		.amdhsa_float_denorm_mode_32 3
		.amdhsa_float_denorm_mode_16_64 3
		.amdhsa_dx10_clamp 1
		.amdhsa_ieee_mode 1
		.amdhsa_fp16_overflow 0
		.amdhsa_tg_split 0
		.amdhsa_exception_fp_ieee_invalid_op 0
		.amdhsa_exception_fp_denorm_src 0
		.amdhsa_exception_fp_ieee_div_zero 0
		.amdhsa_exception_fp_ieee_overflow 0
		.amdhsa_exception_fp_ieee_underflow 0
		.amdhsa_exception_fp_ieee_inexact 0
		.amdhsa_exception_int_div_zero 0
	.end_amdhsa_kernel
	.section	.text._Z20subtract_left_kernelIjiiN6hipcub3SumELj64ELj1EEvPKT_PT1_,"axG",@progbits,_Z20subtract_left_kernelIjiiN6hipcub3SumELj64ELj1EEvPKT_PT1_,comdat
.Lfunc_end89:
	.size	_Z20subtract_left_kernelIjiiN6hipcub3SumELj64ELj1EEvPKT_PT1_, .Lfunc_end89-_Z20subtract_left_kernelIjiiN6hipcub3SumELj64ELj1EEvPKT_PT1_
                                        ; -- End function
	.section	.AMDGPU.csdata,"",@progbits
; Kernel info:
; codeLenInByte = 240
; NumSgprs: 16
; NumVgprs: 4
; NumAgprs: 0
; TotalNumVgprs: 4
; ScratchSize: 0
; MemoryBound: 0
; FloatMode: 240
; IeeeMode: 1
; LDSByteSize: 512 bytes/workgroup (compile time only)
; SGPRBlocks: 1
; VGPRBlocks: 0
; NumSGPRsForWavesPerEU: 16
; NumVGPRsForWavesPerEU: 4
; AccumOffset: 4
; Occupancy: 8
; WaveLimiterHint : 0
; COMPUTE_PGM_RSRC2:SCRATCH_EN: 0
; COMPUTE_PGM_RSRC2:USER_SGPR: 6
; COMPUTE_PGM_RSRC2:TRAP_HANDLER: 0
; COMPUTE_PGM_RSRC2:TGID_X_EN: 1
; COMPUTE_PGM_RSRC2:TGID_Y_EN: 0
; COMPUTE_PGM_RSRC2:TGID_Z_EN: 0
; COMPUTE_PGM_RSRC2:TIDIG_COMP_CNT: 0
; COMPUTE_PGM_RSRC3_GFX90A:ACCUM_OFFSET: 0
; COMPUTE_PGM_RSRC3_GFX90A:TG_SPLIT: 0
	.section	.text._Z33subtract_left_partial_tile_kernelIsbi10custom_op2Lj234ELj9EEvPKT_PiPT1_,"axG",@progbits,_Z33subtract_left_partial_tile_kernelIsbi10custom_op2Lj234ELj9EEvPKT_PiPT1_,comdat
	.protected	_Z33subtract_left_partial_tile_kernelIsbi10custom_op2Lj234ELj9EEvPKT_PiPT1_ ; -- Begin function _Z33subtract_left_partial_tile_kernelIsbi10custom_op2Lj234ELj9EEvPKT_PiPT1_
	.globl	_Z33subtract_left_partial_tile_kernelIsbi10custom_op2Lj234ELj9EEvPKT_PiPT1_
	.p2align	8
	.type	_Z33subtract_left_partial_tile_kernelIsbi10custom_op2Lj234ELj9EEvPKT_PiPT1_,@function
_Z33subtract_left_partial_tile_kernelIsbi10custom_op2Lj234ELj9EEvPKT_PiPT1_: ; @_Z33subtract_left_partial_tile_kernelIsbi10custom_op2Lj234ELj9EEvPKT_PiPT1_
; %bb.0:
	s_load_dwordx4 s[0:3], s[4:5], 0x0
	s_load_dwordx2 s[8:9], s[4:5], 0x10
	s_mul_i32 s4, s6, 0x83a
	s_mov_b32 s5, 0
	s_lshl_b64 s[10:11], s[4:5], 1
	s_waitcnt lgkmcnt(0)
	s_add_u32 s10, s0, s10
	v_mul_u32_u24_e32 v1, 9, v0
	s_addc_u32 s11, s1, s11
	v_lshlrev_b32_e32 v6, 1, v1
	global_load_dwordx4 v[2:5], v6, s[10:11]
	global_load_ushort v10, v6, s[10:11] offset:16
	s_mov_b32 s7, s5
	s_lshl_b64 s[10:11], s[6:7], 2
	s_add_u32 s2, s2, s10
	s_addc_u32 s3, s3, s11
	s_load_dword s2, s[2:3], 0x0
	s_bitcmp0_b32 s6, 0
	v_lshlrev_b32_e32 v9, 1, v0
	v_cmp_ne_u32_e32 vcc, 0, v0
	s_cbranch_scc1 .LBB90_4
; %bb.1:
	s_add_i32 s6, s4, -1
	s_mov_b32 s7, s5
	s_lshl_b64 s[6:7], s[6:7], 1
	s_add_u32 s0, s0, s6
	s_addc_u32 s1, s1, s7
	v_mov_b32_e32 v11, 0
	global_load_ushort v6, v11, s[0:1]
	s_waitcnt vmcnt(1)
	ds_write_b16 v9, v10
	s_waitcnt lgkmcnt(0)
	s_barrier
	s_and_saveexec_b64 s[0:1], vcc
	s_cbranch_execz .LBB90_3
; %bb.2:
	s_waitcnt vmcnt(0)
	v_add_u32_e32 v6, -2, v9
	ds_read_u16 v6, v6
.LBB90_3:
	s_or_b64 exec, exec, s[0:1]
	v_mov_b32_e32 v12, 1
	v_lshlrev_b16_sdwa v8, v12, v5 dst_sel:DWORD dst_unused:UNUSED_PAD src0_sel:DWORD src1_sel:WORD_1
	v_cmp_ne_u16_e32 vcc, 0, v10
	v_add_u32_e32 v7, 8, v1
	v_cndmask_b32_e64 v13, 0, 1, vcc
	v_cmp_ne_u16_e32 vcc, v8, v10
	v_cndmask_b32_e64 v8, 0, 1, vcc
	v_cmp_gt_u32_e32 vcc, s2, v7
	v_cmp_ne_u16_sdwa s[0:1], v5, v11 src0_sel:WORD_1 src1_sel:DWORD
	v_lshlrev_b16_e32 v14, 1, v5
	v_cndmask_b32_e32 v8, v13, v8, vcc
	v_add_u32_e32 v7, 7, v1
	v_cndmask_b32_e64 v13, 0, 1, s[0:1]
	v_cmp_ne_u16_sdwa s[0:1], v14, v5 src0_sel:DWORD src1_sel:WORD_1
	v_cndmask_b32_e64 v14, 0, 1, s[0:1]
	v_cmp_gt_u32_e32 vcc, s2, v7
	v_cndmask_b32_e32 v7, v13, v14, vcc
	v_lshlrev_b16_sdwa v13, v12, v4 dst_sel:DWORD dst_unused:UNUSED_PAD src0_sel:DWORD src1_sel:WORD_1
	v_cmp_ne_u16_e32 vcc, v13, v5
	v_cndmask_b32_e64 v13, 0, 1, vcc
	v_cmp_ne_u16_e32 vcc, 0, v5
	v_lshlrev_b32_e32 v7, 8, v7
	v_cndmask_b32_e64 v14, 0, 1, vcc
	v_or_b32_sdwa v13, v13, v7 dst_sel:WORD_1 dst_unused:UNUSED_PAD src0_sel:DWORD src1_sel:DWORD
	v_or_b32_sdwa v7, v14, v7 dst_sel:WORD_1 dst_unused:UNUSED_PAD src0_sel:DWORD src1_sel:DWORD
	v_add_u32_e32 v14, 6, v1
	v_cmp_ne_u16_sdwa s[0:1], v4, v11 src0_sel:WORD_1 src1_sel:DWORD
	v_lshlrev_b16_e32 v15, 1, v4
	v_cmp_gt_u32_e32 vcc, s2, v14
	v_cndmask_b32_e64 v14, 0, 1, s[0:1]
	v_cmp_ne_u16_sdwa s[0:1], v15, v4 src0_sel:DWORD src1_sel:WORD_1
	v_cndmask_b32_e64 v15, 0, 1, s[0:1]
	v_cndmask_b32_e32 v7, v7, v13, vcc
	v_lshlrev_b16_e32 v14, 8, v14
	v_lshlrev_b16_e32 v15, 8, v15
	v_add_u32_e32 v13, 5, v1
	v_or_b32_sdwa v14, v7, v14 dst_sel:DWORD dst_unused:UNUSED_PAD src0_sel:BYTE_0 src1_sel:DWORD
	v_or_b32_sdwa v15, v7, v15 dst_sel:DWORD dst_unused:UNUSED_PAD src0_sel:BYTE_0 src1_sel:DWORD
	v_and_b32_e32 v14, 0xffff, v14
	v_and_b32_e32 v15, 0xffff, v15
	v_cmp_gt_u32_e32 vcc, s2, v13
	v_cndmask_b32_e32 v13, v14, v15, vcc
	v_lshlrev_b16_sdwa v14, v12, v3 dst_sel:DWORD dst_unused:UNUSED_PAD src0_sel:DWORD src1_sel:WORD_1
	v_cmp_ne_u16_e32 vcc, v14, v4
	v_cndmask_b32_e64 v14, 0, 1, vcc
	v_cmp_ne_u16_e32 vcc, 0, v4
	v_and_b32_e32 v13, 0x100, v13
	v_cndmask_b32_e64 v15, 0, 1, vcc
	v_or_b32_e32 v14, v14, v13
	v_or_b32_e32 v13, v15, v13
	v_add_u32_e32 v15, 4, v1
	v_and_b32_e32 v13, 0xffff, v13
	v_and_b32_e32 v14, 0xffff, v14
	v_cmp_gt_u32_e32 vcc, s2, v15
	v_cmp_ne_u16_sdwa s[0:1], v3, v11 src0_sel:WORD_1 src1_sel:DWORD
	v_lshlrev_b16_e32 v15, 1, v3
	v_cndmask_b32_e32 v13, v13, v14, vcc
	v_cndmask_b32_e64 v14, 0, 1, s[0:1]
	v_cmp_ne_u16_sdwa s[0:1], v15, v3 src0_sel:DWORD src1_sel:WORD_1
	v_or_b32_e32 v7, v13, v7
	v_add_u32_e32 v13, 3, v1
	v_cndmask_b32_e64 v15, 0, 1, s[0:1]
	v_lshlrev_b16_e32 v14, 8, v14
	v_lshlrev_b16_e32 v15, 8, v15
	v_cmp_gt_u32_e32 vcc, s2, v13
	v_lshlrev_b16_sdwa v12, v12, v2 dst_sel:DWORD dst_unused:UNUSED_PAD src0_sel:DWORD src1_sel:WORD_1
	v_cndmask_b32_e32 v13, v14, v15, vcc
	v_cmp_ne_u16_e32 vcc, v12, v3
	v_cndmask_b32_e64 v12, 0, 1, vcc
	v_cmp_ne_u16_e32 vcc, 0, v3
	v_cndmask_b32_e64 v14, 0, 1, vcc
	v_or_b32_e32 v12, v12, v13
	v_or_b32_e32 v13, v14, v13
	v_add_u32_e32 v14, 2, v1
	v_cmp_gt_u32_e32 vcc, s2, v14
	v_cmp_ne_u16_sdwa s[0:1], v2, v11 src0_sel:WORD_1 src1_sel:DWORD
	v_lshlrev_b16_e32 v14, 1, v2
	v_cndmask_b32_e64 v11, 0, 1, s[0:1]
	v_cmp_ne_u16_sdwa s[0:1], v14, v2 src0_sel:DWORD src1_sel:WORD_1
	v_cndmask_b32_e32 v12, v13, v12, vcc
	v_add_u32_e32 v13, 1, v1
	v_cndmask_b32_e64 v14, 0, 1, s[0:1]
	v_lshlrev_b16_e32 v11, 8, v11
	v_lshlrev_b16_e32 v14, 8, v14
	v_cmp_gt_u32_e32 vcc, s2, v13
	v_cndmask_b32_e32 v11, v11, v14, vcc
	s_waitcnt vmcnt(0) lgkmcnt(0)
	v_lshlrev_b16_e32 v6, 1, v6
	v_cmp_gt_u32_e32 vcc, s2, v1
	v_cndmask_b32_e32 v6, 0, v6, vcc
	v_cmp_ne_u16_e32 vcc, v2, v6
	v_mov_b32_e32 v14, 8
	v_cndmask_b32_e64 v6, 0, 1, vcc
	v_and_b32_e32 v13, 1, v12
	v_lshrrev_b32_sdwa v12, v14, v12 dst_sel:BYTE_1 dst_unused:UNUSED_PAD src0_sel:DWORD src1_sel:DWORD
	v_lshrrev_b32_sdwa v11, v14, v11 dst_sel:BYTE_1 dst_unused:UNUSED_PAD src0_sel:DWORD src1_sel:DWORD
	v_or_b32_sdwa v12, v13, v12 dst_sel:WORD_1 dst_unused:UNUSED_PAD src0_sel:DWORD src1_sel:DWORD
	v_or_b32_e32 v6, v6, v11
	v_or_b32_sdwa v6, v6, v12 dst_sel:DWORD dst_unused:UNUSED_PAD src0_sel:WORD_0 src1_sel:DWORD
	s_branch .LBB90_8
.LBB90_4:
                                        ; implicit-def: $vgpr6_vgpr7_vgpr8
	s_cbranch_execz .LBB90_8
; %bb.5:
	v_mov_b32_e32 v11, 1
	s_waitcnt vmcnt(1)
	v_lshlrev_b16_sdwa v7, v11, v5 dst_sel:DWORD dst_unused:UNUSED_PAD src0_sel:DWORD src1_sel:WORD_1
	s_waitcnt vmcnt(0)
	v_cmp_ne_u16_e32 vcc, 0, v10
	ds_write_b16 v9, v10
	v_add_u32_e32 v6, 8, v1
	v_cndmask_b32_e64 v8, 0, 1, vcc
	v_cmp_ne_u16_e32 vcc, v7, v10
	v_mov_b32_e32 v10, 0
	v_cndmask_b32_e64 v7, 0, 1, vcc
	s_waitcnt lgkmcnt(0)
	v_cmp_gt_u32_e32 vcc, s2, v6
	v_cmp_ne_u16_sdwa s[0:1], v5, v10 src0_sel:WORD_1 src1_sel:DWORD
	v_lshlrev_b16_e32 v12, 1, v5
	v_cndmask_b32_e32 v8, v8, v7, vcc
	v_add_u32_e32 v6, 7, v1
	v_cndmask_b32_e64 v7, 0, 1, s[0:1]
	v_cmp_ne_u16_sdwa s[0:1], v12, v5 src0_sel:DWORD src1_sel:WORD_1
	v_cndmask_b32_e64 v12, 0, 1, s[0:1]
	v_cmp_gt_u32_e32 vcc, s2, v6
	v_cndmask_b32_e32 v6, v7, v12, vcc
	v_lshlrev_b16_sdwa v7, v11, v4 dst_sel:DWORD dst_unused:UNUSED_PAD src0_sel:DWORD src1_sel:WORD_1
	v_cmp_ne_u16_e32 vcc, v7, v5
	v_cndmask_b32_e64 v7, 0, 1, vcc
	v_cmp_ne_u16_e32 vcc, 0, v5
	v_lshlrev_b32_e32 v6, 8, v6
	v_cndmask_b32_e64 v5, 0, 1, vcc
	v_or_b32_sdwa v7, v7, v6 dst_sel:WORD_1 dst_unused:UNUSED_PAD src0_sel:DWORD src1_sel:DWORD
	v_or_b32_sdwa v5, v5, v6 dst_sel:WORD_1 dst_unused:UNUSED_PAD src0_sel:DWORD src1_sel:DWORD
	v_add_u32_e32 v6, 6, v1
	v_cmp_gt_u32_e32 vcc, s2, v6
	v_cmp_ne_u16_sdwa s[0:1], v4, v10 src0_sel:WORD_1 src1_sel:DWORD
	v_lshlrev_b16_e32 v12, 1, v4
	v_cndmask_b32_e32 v5, v5, v7, vcc
	v_cndmask_b32_e64 v7, 0, 1, s[0:1]
	v_cmp_ne_u16_sdwa s[0:1], v12, v4 src0_sel:DWORD src1_sel:WORD_1
	v_cndmask_b32_e64 v12, 0, 1, s[0:1]
	v_lshlrev_b16_e32 v7, 8, v7
	v_lshlrev_b16_e32 v12, 8, v12
	v_add_u32_e32 v6, 5, v1
	v_or_b32_sdwa v7, v5, v7 dst_sel:DWORD dst_unused:UNUSED_PAD src0_sel:BYTE_0 src1_sel:DWORD
	v_or_b32_sdwa v12, v5, v12 dst_sel:DWORD dst_unused:UNUSED_PAD src0_sel:BYTE_0 src1_sel:DWORD
	v_and_b32_e32 v7, 0xffff, v7
	v_and_b32_e32 v12, 0xffff, v12
	v_cmp_gt_u32_e32 vcc, s2, v6
	v_cndmask_b32_e32 v6, v7, v12, vcc
	v_lshlrev_b16_sdwa v7, v11, v3 dst_sel:DWORD dst_unused:UNUSED_PAD src0_sel:DWORD src1_sel:WORD_1
	v_cmp_ne_u16_e32 vcc, v7, v4
	v_cndmask_b32_e64 v7, 0, 1, vcc
	v_cmp_ne_u16_e32 vcc, 0, v4
	v_and_b32_e32 v6, 0x100, v6
	v_cndmask_b32_e64 v4, 0, 1, vcc
	v_or_b32_e32 v7, v7, v6
	v_or_b32_e32 v4, v4, v6
	v_add_u32_e32 v6, 4, v1
	v_and_b32_e32 v4, 0xffff, v4
	v_and_b32_e32 v7, 0xffff, v7
	v_cmp_gt_u32_e32 vcc, s2, v6
	v_cndmask_b32_e32 v4, v4, v7, vcc
	v_cmp_ne_u16_sdwa s[0:1], v3, v10 src0_sel:WORD_1 src1_sel:DWORD
	v_lshlrev_b16_e32 v6, 1, v3
	v_or_b32_e32 v7, v4, v5
	v_cndmask_b32_e64 v5, 0, 1, s[0:1]
	v_cmp_ne_u16_sdwa s[0:1], v6, v3 src0_sel:DWORD src1_sel:WORD_1
	v_add_u32_e32 v4, 3, v1
	v_cndmask_b32_e64 v6, 0, 1, s[0:1]
	v_lshlrev_b16_e32 v5, 8, v5
	v_lshlrev_b16_e32 v6, 8, v6
	v_cmp_gt_u32_e32 vcc, s2, v4
	v_cndmask_b32_e32 v4, v5, v6, vcc
	v_lshlrev_b16_sdwa v5, v11, v2 dst_sel:DWORD dst_unused:UNUSED_PAD src0_sel:DWORD src1_sel:WORD_1
	v_cmp_ne_u16_e32 vcc, v5, v3
	v_cndmask_b32_e64 v5, 0, 1, vcc
	v_cmp_ne_u16_e32 vcc, 0, v3
	v_cndmask_b32_e64 v3, 0, 1, vcc
	v_or_b32_e32 v5, v5, v4
	v_or_b32_e32 v3, v3, v4
	v_add_u32_e32 v4, 2, v1
	v_cmp_gt_u32_e32 vcc, s2, v4
	v_cmp_ne_u16_sdwa s[0:1], v2, v10 src0_sel:WORD_1 src1_sel:DWORD
	v_lshlrev_b16_e32 v6, 1, v2
	v_cndmask_b32_e32 v4, v3, v5, vcc
	v_cndmask_b32_e64 v5, 0, 1, s[0:1]
	v_cmp_ne_u16_sdwa s[0:1], v6, v2 src0_sel:DWORD src1_sel:WORD_1
	v_add_u32_e32 v3, 1, v1
	v_cndmask_b32_e64 v6, 0, 1, s[0:1]
	v_lshlrev_b16_e32 v5, 8, v5
	v_lshlrev_b16_e32 v6, 8, v6
	v_cmp_gt_u32_e32 vcc, s2, v3
	v_cndmask_b32_e32 v5, v5, v6, vcc
	v_cmp_ne_u16_e32 vcc, 0, v2
	v_mov_b32_e32 v3, 8
	v_cndmask_b32_e64 v6, 0, 1, vcc
	v_and_b32_e32 v10, 1, v4
	v_lshrrev_b32_sdwa v4, v3, v4 dst_sel:BYTE_1 dst_unused:UNUSED_PAD src0_sel:DWORD src1_sel:DWORD
	v_lshrrev_b32_sdwa v5, v3, v5 dst_sel:BYTE_1 dst_unused:UNUSED_PAD src0_sel:DWORD src1_sel:DWORD
	v_or_b32_sdwa v4, v10, v4 dst_sel:WORD_1 dst_unused:UNUSED_PAD src0_sel:DWORD src1_sel:DWORD
	v_or_b32_e32 v5, v6, v5
	v_cmp_ne_u32_e32 vcc, 0, v0
	v_cmp_gt_u32_e64 s[0:1], s2, v1
	s_movk_i32 s3, 0xff
	v_or_b32_sdwa v6, v5, v4 dst_sel:DWORD dst_unused:UNUSED_PAD src0_sel:WORD_0 src1_sel:DWORD
	s_and_b64 s[6:7], vcc, s[0:1]
	s_barrier
	s_and_saveexec_b64 s[0:1], s[6:7]
	s_cbranch_execz .LBB90_7
; %bb.6:
	v_add_u32_e32 v0, -2, v9
	ds_read_u16 v0, v0
	v_lshrrev_b32_e32 v4, 24, v6
	v_lshrrev_b32_sdwa v3, v3, v6 dst_sel:BYTE_1 dst_unused:UNUSED_PAD src0_sel:DWORD src1_sel:DWORD
	v_lshlrev_b16_e32 v4, 8, v4
	v_and_b32_e32 v8, 0xff, v8
	s_waitcnt lgkmcnt(0)
	v_lshlrev_b16_e32 v0, 1, v0
	v_cmp_ne_u16_e32 vcc, v0, v2
	v_cndmask_b32_e64 v0, 0, 1, vcc
	v_and_b32_sdwa v2, v6, s3 dst_sel:DWORD dst_unused:UNUSED_PAD src0_sel:WORD_1 src1_sel:DWORD
	v_or_b32_e32 v0, v0, v3
	v_or_b32_sdwa v2, v2, v4 dst_sel:WORD_1 dst_unused:UNUSED_PAD src0_sel:DWORD src1_sel:DWORD
	v_or_b32_sdwa v6, v0, v2 dst_sel:DWORD dst_unused:UNUSED_PAD src0_sel:WORD_0 src1_sel:DWORD
.LBB90_7:
	s_or_b64 exec, exec, s[0:1]
.LBB90_8:
	s_lshl_b64 s[0:1], s[4:5], 2
	s_add_u32 s0, s8, s0
	s_addc_u32 s1, s9, s1
	s_waitcnt vmcnt(1)
	v_lshlrev_b32_e32 v4, 2, v1
	v_lshrrev_b32_e32 v3, 24, v6
	v_and_b32_e32 v0, 0xff, v6
	v_bfe_u32 v2, v6, 16, 8
	v_bfe_u32 v1, v6, 8, 8
	global_store_dwordx4 v4, v[0:3], s[0:1]
	s_nop 0
	v_lshrrev_b32_e32 v3, 24, v7
	v_and_b32_e32 v0, 0xff, v7
	v_bfe_u32 v2, v7, 16, 8
	v_bfe_u32 v1, v7, 8, 8
	global_store_dwordx4 v4, v[0:3], s[0:1] offset:16
	s_nop 0
	v_and_b32_e32 v0, 0xff, v8
	global_store_dword v4, v0, s[0:1] offset:32
	s_endpgm
	.section	.rodata,"a",@progbits
	.p2align	6, 0x0
	.amdhsa_kernel _Z33subtract_left_partial_tile_kernelIsbi10custom_op2Lj234ELj9EEvPKT_PiPT1_
		.amdhsa_group_segment_fixed_size 936
		.amdhsa_private_segment_fixed_size 0
		.amdhsa_kernarg_size 24
		.amdhsa_user_sgpr_count 6
		.amdhsa_user_sgpr_private_segment_buffer 1
		.amdhsa_user_sgpr_dispatch_ptr 0
		.amdhsa_user_sgpr_queue_ptr 0
		.amdhsa_user_sgpr_kernarg_segment_ptr 1
		.amdhsa_user_sgpr_dispatch_id 0
		.amdhsa_user_sgpr_flat_scratch_init 0
		.amdhsa_user_sgpr_kernarg_preload_length 0
		.amdhsa_user_sgpr_kernarg_preload_offset 0
		.amdhsa_user_sgpr_private_segment_size 0
		.amdhsa_uses_dynamic_stack 0
		.amdhsa_system_sgpr_private_segment_wavefront_offset 0
		.amdhsa_system_sgpr_workgroup_id_x 1
		.amdhsa_system_sgpr_workgroup_id_y 0
		.amdhsa_system_sgpr_workgroup_id_z 0
		.amdhsa_system_sgpr_workgroup_info 0
		.amdhsa_system_vgpr_workitem_id 0
		.amdhsa_next_free_vgpr 16
		.amdhsa_next_free_sgpr 12
		.amdhsa_accum_offset 16
		.amdhsa_reserve_vcc 1
		.amdhsa_reserve_flat_scratch 0
		.amdhsa_float_round_mode_32 0
		.amdhsa_float_round_mode_16_64 0
		.amdhsa_float_denorm_mode_32 3
		.amdhsa_float_denorm_mode_16_64 3
		.amdhsa_dx10_clamp 1
		.amdhsa_ieee_mode 1
		.amdhsa_fp16_overflow 0
		.amdhsa_tg_split 0
		.amdhsa_exception_fp_ieee_invalid_op 0
		.amdhsa_exception_fp_denorm_src 0
		.amdhsa_exception_fp_ieee_div_zero 0
		.amdhsa_exception_fp_ieee_overflow 0
		.amdhsa_exception_fp_ieee_underflow 0
		.amdhsa_exception_fp_ieee_inexact 0
		.amdhsa_exception_int_div_zero 0
	.end_amdhsa_kernel
	.section	.text._Z33subtract_left_partial_tile_kernelIsbi10custom_op2Lj234ELj9EEvPKT_PiPT1_,"axG",@progbits,_Z33subtract_left_partial_tile_kernelIsbi10custom_op2Lj234ELj9EEvPKT_PiPT1_,comdat
.Lfunc_end90:
	.size	_Z33subtract_left_partial_tile_kernelIsbi10custom_op2Lj234ELj9EEvPKT_PiPT1_, .Lfunc_end90-_Z33subtract_left_partial_tile_kernelIsbi10custom_op2Lj234ELj9EEvPKT_PiPT1_
                                        ; -- End function
	.section	.AMDGPU.csdata,"",@progbits
; Kernel info:
; codeLenInByte = 1572
; NumSgprs: 16
; NumVgprs: 16
; NumAgprs: 0
; TotalNumVgprs: 16
; ScratchSize: 0
; MemoryBound: 0
; FloatMode: 240
; IeeeMode: 1
; LDSByteSize: 936 bytes/workgroup (compile time only)
; SGPRBlocks: 1
; VGPRBlocks: 1
; NumSGPRsForWavesPerEU: 16
; NumVGPRsForWavesPerEU: 16
; AccumOffset: 16
; Occupancy: 8
; WaveLimiterHint : 0
; COMPUTE_PGM_RSRC2:SCRATCH_EN: 0
; COMPUTE_PGM_RSRC2:USER_SGPR: 6
; COMPUTE_PGM_RSRC2:TRAP_HANDLER: 0
; COMPUTE_PGM_RSRC2:TGID_X_EN: 1
; COMPUTE_PGM_RSRC2:TGID_Y_EN: 0
; COMPUTE_PGM_RSRC2:TGID_Z_EN: 0
; COMPUTE_PGM_RSRC2:TIDIG_COMP_CNT: 0
; COMPUTE_PGM_RSRC3_GFX90A:ACCUM_OFFSET: 3
; COMPUTE_PGM_RSRC3_GFX90A:TG_SPLIT: 0
	.section	.text._Z33subtract_left_partial_tile_kernelItii10custom_op1Lj100ELj3EEvPKT_PiPT1_,"axG",@progbits,_Z33subtract_left_partial_tile_kernelItii10custom_op1Lj100ELj3EEvPKT_PiPT1_,comdat
	.protected	_Z33subtract_left_partial_tile_kernelItii10custom_op1Lj100ELj3EEvPKT_PiPT1_ ; -- Begin function _Z33subtract_left_partial_tile_kernelItii10custom_op1Lj100ELj3EEvPKT_PiPT1_
	.globl	_Z33subtract_left_partial_tile_kernelItii10custom_op1Lj100ELj3EEvPKT_PiPT1_
	.p2align	8
	.type	_Z33subtract_left_partial_tile_kernelItii10custom_op1Lj100ELj3EEvPKT_PiPT1_,@function
_Z33subtract_left_partial_tile_kernelItii10custom_op1Lj100ELj3EEvPKT_PiPT1_: ; @_Z33subtract_left_partial_tile_kernelItii10custom_op1Lj100ELj3EEvPKT_PiPT1_
; %bb.0:
	s_load_dwordx4 s[0:3], s[4:5], 0x0
	s_load_dwordx2 s[8:9], s[4:5], 0x10
	s_mul_i32 s4, s6, 0x12c
	s_mov_b32 s5, 0
	s_lshl_b64 s[10:11], s[4:5], 1
	s_waitcnt lgkmcnt(0)
	s_add_u32 s10, s0, s10
	v_mul_u32_u24_e32 v1, 3, v0
	s_addc_u32 s11, s1, s11
	v_lshlrev_b32_e32 v2, 1, v1
	global_load_dword v4, v2, s[10:11]
	global_load_ushort v3, v2, s[10:11] offset:4
	s_mov_b32 s7, s5
	s_lshl_b64 s[10:11], s[6:7], 2
	s_add_u32 s2, s2, s10
	s_addc_u32 s3, s3, s11
	s_load_dword s2, s[2:3], 0x0
	v_lshlrev_b32_e32 v7, 1, v0
	s_bitcmp0_b32 s6, 0
	v_cmp_ne_u32_e32 vcc, 0, v0
	s_waitcnt vmcnt(1)
	v_lshrrev_b32_e32 v8, 16, v4
	v_and_b32_e32 v2, 0xffff, v4
	s_cbranch_scc1 .LBB91_4
; %bb.1:
	s_add_i32 s6, s4, -1
	s_mov_b32 s7, s5
	s_lshl_b64 s[6:7], s[6:7], 1
	s_add_u32 s0, s0, s6
	s_addc_u32 s1, s1, s7
	v_mov_b32_e32 v4, 0
	global_load_ushort v4, v4, s[0:1]
	s_waitcnt vmcnt(1)
	ds_write_b16 v7, v3
	s_waitcnt lgkmcnt(0)
	s_barrier
	s_and_saveexec_b64 s[0:1], vcc
	s_cbranch_execz .LBB91_3
; %bb.2:
	s_waitcnt vmcnt(0)
	v_add_u32_e32 v4, -2, v7
	ds_read_u16 v4, v4
.LBB91_3:
	s_or_b64 exec, exec, s[0:1]
	v_add_u32_e32 v6, 2, v1
	v_and_b32_e32 v5, 0xffff, v3
	v_sub_u16_e32 v9, v3, v8
	v_cmp_gt_u32_e32 vcc, s2, v6
	v_cndmask_b32_e32 v6, v5, v9, vcc
	v_add_u32_e32 v5, 1, v1
	v_sub_u16_e32 v9, v8, v2
	v_cmp_gt_u32_e32 vcc, s2, v5
	v_cndmask_b32_e32 v5, v8, v9, vcc
	v_cmp_gt_u32_e32 vcc, s2, v1
	s_waitcnt vmcnt(0) lgkmcnt(0)
	v_cndmask_b32_e32 v4, 0, v4, vcc
	v_sub_u16_e32 v4, v2, v4
	s_branch .LBB91_8
.LBB91_4:
                                        ; implicit-def: $vgpr4_vgpr5_vgpr6
	s_cbranch_execz .LBB91_8
; %bb.5:
	v_add_u32_e32 v5, 2, v1
	s_waitcnt vmcnt(0)
	v_and_b32_e32 v4, 0xffff, v3
	ds_write_b16 v7, v3
	v_sub_u16_e32 v3, v3, v8
	s_waitcnt lgkmcnt(0)
	v_cmp_gt_u32_e32 vcc, s2, v5
	v_cndmask_b32_e32 v4, v4, v3, vcc
	v_add_u32_e32 v3, 1, v1
	v_sub_u16_e32 v5, v8, v2
	v_cmp_gt_u32_e32 vcc, s2, v3
	v_cndmask_b32_e32 v3, v8, v5, vcc
	v_cmp_ne_u32_e32 vcc, 0, v0
	v_cmp_gt_u32_e64 s[0:1], s2, v1
	s_and_b64 s[2:3], vcc, s[0:1]
	s_barrier
	s_and_saveexec_b64 s[0:1], s[2:3]
	s_cbranch_execz .LBB91_7
; %bb.6:
	v_add_u32_e32 v0, -2, v7
	ds_read_u16 v0, v0
	s_waitcnt lgkmcnt(0)
	v_sub_u16_e32 v2, v2, v0
.LBB91_7:
	s_or_b64 exec, exec, s[0:1]
	v_mov_b32_e32 v6, v4
	v_mov_b32_e32 v5, v3
	;; [unrolled: 1-line block ×3, first 2 shown]
.LBB91_8:
	s_lshl_b64 s[0:1], s[4:5], 2
	s_add_u32 s0, s8, s0
	s_addc_u32 s1, s9, s1
	v_lshlrev_b32_e32 v0, 2, v1
	global_store_dwordx3 v0, v[4:6], s[0:1]
	s_endpgm
	.section	.rodata,"a",@progbits
	.p2align	6, 0x0
	.amdhsa_kernel _Z33subtract_left_partial_tile_kernelItii10custom_op1Lj100ELj3EEvPKT_PiPT1_
		.amdhsa_group_segment_fixed_size 400
		.amdhsa_private_segment_fixed_size 0
		.amdhsa_kernarg_size 24
		.amdhsa_user_sgpr_count 6
		.amdhsa_user_sgpr_private_segment_buffer 1
		.amdhsa_user_sgpr_dispatch_ptr 0
		.amdhsa_user_sgpr_queue_ptr 0
		.amdhsa_user_sgpr_kernarg_segment_ptr 1
		.amdhsa_user_sgpr_dispatch_id 0
		.amdhsa_user_sgpr_flat_scratch_init 0
		.amdhsa_user_sgpr_kernarg_preload_length 0
		.amdhsa_user_sgpr_kernarg_preload_offset 0
		.amdhsa_user_sgpr_private_segment_size 0
		.amdhsa_uses_dynamic_stack 0
		.amdhsa_system_sgpr_private_segment_wavefront_offset 0
		.amdhsa_system_sgpr_workgroup_id_x 1
		.amdhsa_system_sgpr_workgroup_id_y 0
		.amdhsa_system_sgpr_workgroup_id_z 0
		.amdhsa_system_sgpr_workgroup_info 0
		.amdhsa_system_vgpr_workitem_id 0
		.amdhsa_next_free_vgpr 10
		.amdhsa_next_free_sgpr 12
		.amdhsa_accum_offset 12
		.amdhsa_reserve_vcc 1
		.amdhsa_reserve_flat_scratch 0
		.amdhsa_float_round_mode_32 0
		.amdhsa_float_round_mode_16_64 0
		.amdhsa_float_denorm_mode_32 3
		.amdhsa_float_denorm_mode_16_64 3
		.amdhsa_dx10_clamp 1
		.amdhsa_ieee_mode 1
		.amdhsa_fp16_overflow 0
		.amdhsa_tg_split 0
		.amdhsa_exception_fp_ieee_invalid_op 0
		.amdhsa_exception_fp_denorm_src 0
		.amdhsa_exception_fp_ieee_div_zero 0
		.amdhsa_exception_fp_ieee_overflow 0
		.amdhsa_exception_fp_ieee_underflow 0
		.amdhsa_exception_fp_ieee_inexact 0
		.amdhsa_exception_int_div_zero 0
	.end_amdhsa_kernel
	.section	.text._Z33subtract_left_partial_tile_kernelItii10custom_op1Lj100ELj3EEvPKT_PiPT1_,"axG",@progbits,_Z33subtract_left_partial_tile_kernelItii10custom_op1Lj100ELj3EEvPKT_PiPT1_,comdat
.Lfunc_end91:
	.size	_Z33subtract_left_partial_tile_kernelItii10custom_op1Lj100ELj3EEvPKT_PiPT1_, .Lfunc_end91-_Z33subtract_left_partial_tile_kernelItii10custom_op1Lj100ELj3EEvPKT_PiPT1_
                                        ; -- End function
	.section	.AMDGPU.csdata,"",@progbits
; Kernel info:
; codeLenInByte = 416
; NumSgprs: 16
; NumVgprs: 10
; NumAgprs: 0
; TotalNumVgprs: 10
; ScratchSize: 0
; MemoryBound: 0
; FloatMode: 240
; IeeeMode: 1
; LDSByteSize: 400 bytes/workgroup (compile time only)
; SGPRBlocks: 1
; VGPRBlocks: 1
; NumSGPRsForWavesPerEU: 16
; NumVGPRsForWavesPerEU: 10
; AccumOffset: 12
; Occupancy: 8
; WaveLimiterHint : 0
; COMPUTE_PGM_RSRC2:SCRATCH_EN: 0
; COMPUTE_PGM_RSRC2:USER_SGPR: 6
; COMPUTE_PGM_RSRC2:TRAP_HANDLER: 0
; COMPUTE_PGM_RSRC2:TGID_X_EN: 1
; COMPUTE_PGM_RSRC2:TGID_Y_EN: 0
; COMPUTE_PGM_RSRC2:TGID_Z_EN: 0
; COMPUTE_PGM_RSRC2:TIDIG_COMP_CNT: 0
; COMPUTE_PGM_RSRC3_GFX90A:ACCUM_OFFSET: 2
; COMPUTE_PGM_RSRC3_GFX90A:TG_SPLIT: 0
	.section	.text._Z33subtract_left_partial_tile_kernelIdjjN6hipcub3SumELj464ELj2EEvPKT_PiPT1_,"axG",@progbits,_Z33subtract_left_partial_tile_kernelIdjjN6hipcub3SumELj464ELj2EEvPKT_PiPT1_,comdat
	.protected	_Z33subtract_left_partial_tile_kernelIdjjN6hipcub3SumELj464ELj2EEvPKT_PiPT1_ ; -- Begin function _Z33subtract_left_partial_tile_kernelIdjjN6hipcub3SumELj464ELj2EEvPKT_PiPT1_
	.globl	_Z33subtract_left_partial_tile_kernelIdjjN6hipcub3SumELj464ELj2EEvPKT_PiPT1_
	.p2align	8
	.type	_Z33subtract_left_partial_tile_kernelIdjjN6hipcub3SumELj464ELj2EEvPKT_PiPT1_,@function
_Z33subtract_left_partial_tile_kernelIdjjN6hipcub3SumELj464ELj2EEvPKT_PiPT1_: ; @_Z33subtract_left_partial_tile_kernelIdjjN6hipcub3SumELj464ELj2EEvPKT_PiPT1_
; %bb.0:
	s_load_dwordx4 s[0:3], s[4:5], 0x0
	s_load_dwordx2 s[8:9], s[4:5], 0x10
	s_mul_i32 s4, s6, 0x3a0
	s_mov_b32 s5, 0
	s_lshl_b64 s[10:11], s[4:5], 3
	s_waitcnt lgkmcnt(0)
	s_add_u32 s10, s0, s10
	s_addc_u32 s11, s1, s11
	v_lshlrev_b32_e32 v1, 4, v0
	global_load_dwordx4 v[2:5], v1, s[10:11]
	s_mov_b32 s7, s5
	s_lshl_b64 s[10:11], s[6:7], 2
	s_add_u32 s2, s2, s10
	s_addc_u32 s3, s3, s11
	s_load_dword s2, s[2:3], 0x0
	v_lshlrev_b32_e32 v1, 1, v0
	s_bitcmp0_b32 s6, 0
	v_lshlrev_b32_e32 v10, 3, v0
	v_cmp_ne_u32_e32 vcc, 0, v0
	s_cbranch_scc1 .LBB92_4
; %bb.1:
	s_add_i32 s6, s4, -1
	s_mov_b32 s7, s5
	s_lshl_b64 s[6:7], s[6:7], 3
	s_add_u32 s0, s0, s6
	s_addc_u32 s1, s1, s7
	s_load_dwordx2 s[0:1], s[0:1], 0x0
	s_waitcnt vmcnt(0)
	ds_write_b64 v10, v[4:5]
	s_waitcnt lgkmcnt(0)
	s_barrier
	v_pk_mov_b32 v[8:9], s[0:1], s[0:1] op_sel:[0,1]
	s_and_saveexec_b64 s[0:1], vcc
	s_cbranch_execz .LBB92_3
; %bb.2:
	v_add_u32_e32 v6, -8, v10
	ds_read_b64 v[8:9], v6
.LBB92_3:
	s_or_b64 exec, exec, s[0:1]
	v_or_b32_e32 v11, 1, v1
	v_add_f64 v[6:7], v[2:3], v[4:5]
	v_cvt_u32_f64_e32 v12, v[4:5]
	v_cvt_u32_f64_e32 v6, v[6:7]
	v_cmp_gt_u32_e32 vcc, s2, v11
	v_cndmask_b32_e32 v7, v12, v6, vcc
	s_waitcnt lgkmcnt(0)
	v_add_f64 v[8:9], v[2:3], v[8:9]
	v_cmp_gt_u32_e32 vcc, s2, v1
	v_cndmask_b32_e32 v9, v3, v9, vcc
	v_cndmask_b32_e32 v8, v2, v8, vcc
	v_cvt_u32_f64_e32 v6, v[8:9]
	s_branch .LBB92_8
.LBB92_4:
                                        ; implicit-def: $vgpr6_vgpr7
	s_cbranch_execz .LBB92_8
; %bb.5:
	s_waitcnt vmcnt(0)
	ds_write_b64 v10, v[4:5]
	v_or_b32_e32 v6, 1, v1
	v_cvt_u32_f64_e32 v7, v[4:5]
	v_add_f64 v[4:5], v[2:3], v[4:5]
	v_cvt_u32_f64_e32 v4, v[4:5]
	s_waitcnt lgkmcnt(0)
	v_cmp_gt_u32_e32 vcc, s2, v6
	v_cndmask_b32_e32 v7, v7, v4, vcc
	v_cmp_ne_u32_e32 vcc, 0, v0
	v_cmp_gt_u32_e64 s[0:1], s2, v1
	v_cvt_u32_f64_e32 v6, v[2:3]
	s_and_b64 s[2:3], vcc, s[0:1]
	s_barrier
	s_and_saveexec_b64 s[0:1], s[2:3]
	s_cbranch_execz .LBB92_7
; %bb.6:
	v_add_u32_e32 v0, -8, v10
	ds_read_b64 v[4:5], v0
	s_waitcnt lgkmcnt(0)
	v_add_f64 v[2:3], v[2:3], v[4:5]
	v_cvt_u32_f64_e32 v6, v[2:3]
.LBB92_7:
	s_or_b64 exec, exec, s[0:1]
.LBB92_8:
	s_lshl_b64 s[0:1], s[4:5], 2
	s_add_u32 s0, s8, s0
	s_addc_u32 s1, s9, s1
	v_lshlrev_b32_e32 v0, 2, v1
	global_store_dwordx2 v0, v[6:7], s[0:1]
	s_endpgm
	.section	.rodata,"a",@progbits
	.p2align	6, 0x0
	.amdhsa_kernel _Z33subtract_left_partial_tile_kernelIdjjN6hipcub3SumELj464ELj2EEvPKT_PiPT1_
		.amdhsa_group_segment_fixed_size 7424
		.amdhsa_private_segment_fixed_size 0
		.amdhsa_kernarg_size 24
		.amdhsa_user_sgpr_count 6
		.amdhsa_user_sgpr_private_segment_buffer 1
		.amdhsa_user_sgpr_dispatch_ptr 0
		.amdhsa_user_sgpr_queue_ptr 0
		.amdhsa_user_sgpr_kernarg_segment_ptr 1
		.amdhsa_user_sgpr_dispatch_id 0
		.amdhsa_user_sgpr_flat_scratch_init 0
		.amdhsa_user_sgpr_kernarg_preload_length 0
		.amdhsa_user_sgpr_kernarg_preload_offset 0
		.amdhsa_user_sgpr_private_segment_size 0
		.amdhsa_uses_dynamic_stack 0
		.amdhsa_system_sgpr_private_segment_wavefront_offset 0
		.amdhsa_system_sgpr_workgroup_id_x 1
		.amdhsa_system_sgpr_workgroup_id_y 0
		.amdhsa_system_sgpr_workgroup_id_z 0
		.amdhsa_system_sgpr_workgroup_info 0
		.amdhsa_system_vgpr_workitem_id 0
		.amdhsa_next_free_vgpr 13
		.amdhsa_next_free_sgpr 12
		.amdhsa_accum_offset 16
		.amdhsa_reserve_vcc 1
		.amdhsa_reserve_flat_scratch 0
		.amdhsa_float_round_mode_32 0
		.amdhsa_float_round_mode_16_64 0
		.amdhsa_float_denorm_mode_32 3
		.amdhsa_float_denorm_mode_16_64 3
		.amdhsa_dx10_clamp 1
		.amdhsa_ieee_mode 1
		.amdhsa_fp16_overflow 0
		.amdhsa_tg_split 0
		.amdhsa_exception_fp_ieee_invalid_op 0
		.amdhsa_exception_fp_denorm_src 0
		.amdhsa_exception_fp_ieee_div_zero 0
		.amdhsa_exception_fp_ieee_overflow 0
		.amdhsa_exception_fp_ieee_underflow 0
		.amdhsa_exception_fp_ieee_inexact 0
		.amdhsa_exception_int_div_zero 0
	.end_amdhsa_kernel
	.section	.text._Z33subtract_left_partial_tile_kernelIdjjN6hipcub3SumELj464ELj2EEvPKT_PiPT1_,"axG",@progbits,_Z33subtract_left_partial_tile_kernelIdjjN6hipcub3SumELj464ELj2EEvPKT_PiPT1_,comdat
.Lfunc_end92:
	.size	_Z33subtract_left_partial_tile_kernelIdjjN6hipcub3SumELj464ELj2EEvPKT_PiPT1_, .Lfunc_end92-_Z33subtract_left_partial_tile_kernelIdjjN6hipcub3SumELj464ELj2EEvPKT_PiPT1_
                                        ; -- End function
	.section	.AMDGPU.csdata,"",@progbits
; Kernel info:
; codeLenInByte = 380
; NumSgprs: 16
; NumVgprs: 13
; NumAgprs: 0
; TotalNumVgprs: 13
; ScratchSize: 0
; MemoryBound: 0
; FloatMode: 240
; IeeeMode: 1
; LDSByteSize: 7424 bytes/workgroup (compile time only)
; SGPRBlocks: 1
; VGPRBlocks: 1
; NumSGPRsForWavesPerEU: 16
; NumVGPRsForWavesPerEU: 13
; AccumOffset: 16
; Occupancy: 8
; WaveLimiterHint : 0
; COMPUTE_PGM_RSRC2:SCRATCH_EN: 0
; COMPUTE_PGM_RSRC2:USER_SGPR: 6
; COMPUTE_PGM_RSRC2:TRAP_HANDLER: 0
; COMPUTE_PGM_RSRC2:TGID_X_EN: 1
; COMPUTE_PGM_RSRC2:TGID_Y_EN: 0
; COMPUTE_PGM_RSRC2:TGID_Z_EN: 0
; COMPUTE_PGM_RSRC2:TIDIG_COMP_CNT: 0
; COMPUTE_PGM_RSRC3_GFX90A:ACCUM_OFFSET: 3
; COMPUTE_PGM_RSRC3_GFX90A:TG_SPLIT: 0
	.section	.text._Z33subtract_left_partial_tile_kernelIdii10custom_op2Lj33ELj5EEvPKT_PiPT1_,"axG",@progbits,_Z33subtract_left_partial_tile_kernelIdii10custom_op2Lj33ELj5EEvPKT_PiPT1_,comdat
	.protected	_Z33subtract_left_partial_tile_kernelIdii10custom_op2Lj33ELj5EEvPKT_PiPT1_ ; -- Begin function _Z33subtract_left_partial_tile_kernelIdii10custom_op2Lj33ELj5EEvPKT_PiPT1_
	.globl	_Z33subtract_left_partial_tile_kernelIdii10custom_op2Lj33ELj5EEvPKT_PiPT1_
	.p2align	8
	.type	_Z33subtract_left_partial_tile_kernelIdii10custom_op2Lj33ELj5EEvPKT_PiPT1_,@function
_Z33subtract_left_partial_tile_kernelIdii10custom_op2Lj33ELj5EEvPKT_PiPT1_: ; @_Z33subtract_left_partial_tile_kernelIdii10custom_op2Lj33ELj5EEvPKT_PiPT1_
; %bb.0:
	s_load_dwordx4 s[0:3], s[4:5], 0x0
	s_load_dwordx2 s[8:9], s[4:5], 0x10
	s_mul_i32 s4, s6, 0xa5
	s_mov_b32 s5, 0
	s_lshl_b64 s[10:11], s[4:5], 3
	s_waitcnt lgkmcnt(0)
	s_add_u32 s10, s0, s10
	v_mul_u32_u24_e32 v1, 5, v0
	s_addc_u32 s11, s1, s11
	v_lshlrev_b32_e32 v2, 3, v1
	global_load_dwordx2 v[16:17], v2, s[10:11] offset:32
	global_load_dwordx4 v[12:15], v2, s[10:11] offset:16
	global_load_dwordx4 v[8:11], v2, s[10:11]
	s_mov_b32 s7, s5
	s_lshl_b64 s[10:11], s[6:7], 2
	s_add_u32 s2, s2, s10
	s_addc_u32 s3, s3, s11
	s_load_dword s2, s[2:3], 0x0
	s_bitcmp0_b32 s6, 0
	v_lshlrev_b32_e32 v7, 3, v0
	v_cmp_ne_u32_e32 vcc, 0, v0
	s_cbranch_scc1 .LBB93_4
; %bb.1:
	s_add_i32 s6, s4, -1
	s_mov_b32 s7, s5
	s_lshl_b64 s[6:7], s[6:7], 3
	s_add_u32 s0, s0, s6
	s_addc_u32 s1, s1, s7
	s_load_dwordx2 s[0:1], s[0:1], 0x0
	s_waitcnt vmcnt(2)
	ds_write_b64 v7, v[16:17]
	s_waitcnt lgkmcnt(0)
	; wave barrier
	s_waitcnt lgkmcnt(0)
	v_pk_mov_b32 v[18:19], s[0:1], s[0:1] op_sel:[0,1]
	s_and_saveexec_b64 s[0:1], vcc
	s_cbranch_execz .LBB93_3
; %bb.2:
	v_add_u32_e32 v2, -8, v7
	ds_read_b64 v[18:19], v2
.LBB93_3:
	s_or_b64 exec, exec, s[0:1]
	v_add_u32_e32 v4, 4, v1
	s_waitcnt vmcnt(1)
	v_fma_f64 v[2:3], v[14:15], 2.0, -v[16:17]
	v_cvt_i32_f64_e32 v5, v[16:17]
	v_cvt_i32_f64_e32 v2, v[2:3]
	v_cmp_gt_u32_e32 vcc, s2, v4
	v_cndmask_b32_e32 v6, v5, v2, vcc
	v_add_u32_e32 v4, 3, v1
	v_fma_f64 v[2:3], v[12:13], 2.0, -v[14:15]
	v_cvt_i32_f64_e32 v5, v[14:15]
	v_cvt_i32_f64_e32 v2, v[2:3]
	v_cmp_gt_u32_e32 vcc, s2, v4
	v_cndmask_b32_e32 v5, v5, v2, vcc
	v_add_u32_e32 v4, 2, v1
	s_waitcnt vmcnt(0)
	v_fma_f64 v[2:3], v[10:11], 2.0, -v[12:13]
	v_cvt_i32_f64_e32 v20, v[12:13]
	v_cvt_i32_f64_e32 v2, v[2:3]
	v_cmp_gt_u32_e32 vcc, s2, v4
	v_cndmask_b32_e32 v4, v20, v2, vcc
	v_add_u32_e32 v20, 1, v1
	v_fma_f64 v[2:3], v[8:9], 2.0, -v[10:11]
	v_cvt_i32_f64_e32 v21, v[10:11]
	v_cvt_i32_f64_e32 v2, v[2:3]
	v_cmp_gt_u32_e32 vcc, s2, v20
	v_cndmask_b32_e32 v3, v21, v2, vcc
	s_waitcnt lgkmcnt(0)
	v_fma_f64 v[18:19], v[18:19], 2.0, -v[8:9]
	v_cmp_gt_u32_e32 vcc, s2, v1
	v_cndmask_b32_e32 v19, v9, v19, vcc
	v_cndmask_b32_e32 v18, v8, v18, vcc
	v_cvt_i32_f64_e32 v2, v[18:19]
	s_branch .LBB93_8
.LBB93_4:
                                        ; implicit-def: $vgpr2_vgpr3_vgpr4_vgpr5_vgpr6
	s_cbranch_execz .LBB93_8
; %bb.5:
	v_add_u32_e32 v4, 4, v1
	s_waitcnt vmcnt(1)
	v_fma_f64 v[2:3], v[14:15], 2.0, -v[16:17]
	v_cvt_i32_f64_e32 v5, v[16:17]
	v_cvt_i32_f64_e32 v2, v[2:3]
	s_waitcnt lgkmcnt(0)
	v_cmp_gt_u32_e32 vcc, s2, v4
	v_cndmask_b32_e32 v6, v5, v2, vcc
	v_add_u32_e32 v4, 3, v1
	v_fma_f64 v[2:3], v[12:13], 2.0, -v[14:15]
	v_cvt_i32_f64_e32 v5, v[14:15]
	v_cvt_i32_f64_e32 v2, v[2:3]
	v_cmp_gt_u32_e32 vcc, s2, v4
	v_cndmask_b32_e32 v5, v5, v2, vcc
	v_add_u32_e32 v4, 2, v1
	s_waitcnt vmcnt(0)
	v_fma_f64 v[2:3], v[10:11], 2.0, -v[12:13]
	v_cvt_i32_f64_e32 v14, v[12:13]
	v_cvt_i32_f64_e32 v2, v[2:3]
	v_cmp_gt_u32_e32 vcc, s2, v4
	v_cndmask_b32_e32 v4, v14, v2, vcc
	v_add_u32_e32 v12, 1, v1
	v_fma_f64 v[2:3], v[8:9], 2.0, -v[10:11]
	v_cvt_i32_f64_e32 v13, v[10:11]
	v_cvt_i32_f64_e32 v2, v[2:3]
	v_cmp_gt_u32_e32 vcc, s2, v12
	v_cndmask_b32_e32 v3, v13, v2, vcc
	v_cmp_ne_u32_e32 vcc, 0, v0
	v_cmp_gt_u32_e64 s[0:1], s2, v1
	v_cvt_i32_f64_e32 v2, v[8:9]
	s_and_b64 s[2:3], vcc, s[0:1]
	ds_write_b64 v7, v[16:17]
	s_waitcnt lgkmcnt(0)
	; wave barrier
	s_waitcnt lgkmcnt(0)
	s_and_saveexec_b64 s[0:1], s[2:3]
	s_cbranch_execz .LBB93_7
; %bb.6:
	v_add_u32_e32 v0, -8, v7
	ds_read_b64 v[10:11], v0
	s_waitcnt lgkmcnt(0)
	v_fma_f64 v[8:9], v[10:11], 2.0, -v[8:9]
	v_cvt_i32_f64_e32 v2, v[8:9]
.LBB93_7:
	s_or_b64 exec, exec, s[0:1]
.LBB93_8:
	s_lshl_b64 s[0:1], s[4:5], 2
	s_add_u32 s0, s8, s0
	s_addc_u32 s1, s9, s1
	v_lshlrev_b32_e32 v0, 2, v1
	global_store_dwordx4 v0, v[2:5], s[0:1]
	global_store_dword v0, v6, s[0:1] offset:16
	s_endpgm
	.section	.rodata,"a",@progbits
	.p2align	6, 0x0
	.amdhsa_kernel _Z33subtract_left_partial_tile_kernelIdii10custom_op2Lj33ELj5EEvPKT_PiPT1_
		.amdhsa_group_segment_fixed_size 528
		.amdhsa_private_segment_fixed_size 0
		.amdhsa_kernarg_size 24
		.amdhsa_user_sgpr_count 6
		.amdhsa_user_sgpr_private_segment_buffer 1
		.amdhsa_user_sgpr_dispatch_ptr 0
		.amdhsa_user_sgpr_queue_ptr 0
		.amdhsa_user_sgpr_kernarg_segment_ptr 1
		.amdhsa_user_sgpr_dispatch_id 0
		.amdhsa_user_sgpr_flat_scratch_init 0
		.amdhsa_user_sgpr_kernarg_preload_length 0
		.amdhsa_user_sgpr_kernarg_preload_offset 0
		.amdhsa_user_sgpr_private_segment_size 0
		.amdhsa_uses_dynamic_stack 0
		.amdhsa_system_sgpr_private_segment_wavefront_offset 0
		.amdhsa_system_sgpr_workgroup_id_x 1
		.amdhsa_system_sgpr_workgroup_id_y 0
		.amdhsa_system_sgpr_workgroup_id_z 0
		.amdhsa_system_sgpr_workgroup_info 0
		.amdhsa_system_vgpr_workitem_id 0
		.amdhsa_next_free_vgpr 22
		.amdhsa_next_free_sgpr 12
		.amdhsa_accum_offset 24
		.amdhsa_reserve_vcc 1
		.amdhsa_reserve_flat_scratch 0
		.amdhsa_float_round_mode_32 0
		.amdhsa_float_round_mode_16_64 0
		.amdhsa_float_denorm_mode_32 3
		.amdhsa_float_denorm_mode_16_64 3
		.amdhsa_dx10_clamp 1
		.amdhsa_ieee_mode 1
		.amdhsa_fp16_overflow 0
		.amdhsa_tg_split 0
		.amdhsa_exception_fp_ieee_invalid_op 0
		.amdhsa_exception_fp_denorm_src 0
		.amdhsa_exception_fp_ieee_div_zero 0
		.amdhsa_exception_fp_ieee_overflow 0
		.amdhsa_exception_fp_ieee_underflow 0
		.amdhsa_exception_fp_ieee_inexact 0
		.amdhsa_exception_int_div_zero 0
	.end_amdhsa_kernel
	.section	.text._Z33subtract_left_partial_tile_kernelIdii10custom_op2Lj33ELj5EEvPKT_PiPT1_,"axG",@progbits,_Z33subtract_left_partial_tile_kernelIdii10custom_op2Lj33ELj5EEvPKT_PiPT1_,comdat
.Lfunc_end93:
	.size	_Z33subtract_left_partial_tile_kernelIdii10custom_op2Lj33ELj5EEvPKT_PiPT1_, .Lfunc_end93-_Z33subtract_left_partial_tile_kernelIdii10custom_op2Lj33ELj5EEvPKT_PiPT1_
                                        ; -- End function
	.section	.AMDGPU.csdata,"",@progbits
; Kernel info:
; codeLenInByte = 588
; NumSgprs: 16
; NumVgprs: 22
; NumAgprs: 0
; TotalNumVgprs: 22
; ScratchSize: 0
; MemoryBound: 0
; FloatMode: 240
; IeeeMode: 1
; LDSByteSize: 528 bytes/workgroup (compile time only)
; SGPRBlocks: 1
; VGPRBlocks: 2
; NumSGPRsForWavesPerEU: 16
; NumVGPRsForWavesPerEU: 22
; AccumOffset: 24
; Occupancy: 8
; WaveLimiterHint : 0
; COMPUTE_PGM_RSRC2:SCRATCH_EN: 0
; COMPUTE_PGM_RSRC2:USER_SGPR: 6
; COMPUTE_PGM_RSRC2:TRAP_HANDLER: 0
; COMPUTE_PGM_RSRC2:TGID_X_EN: 1
; COMPUTE_PGM_RSRC2:TGID_Y_EN: 0
; COMPUTE_PGM_RSRC2:TGID_Z_EN: 0
; COMPUTE_PGM_RSRC2:TIDIG_COMP_CNT: 0
; COMPUTE_PGM_RSRC3_GFX90A:ACCUM_OFFSET: 5
; COMPUTE_PGM_RSRC3_GFX90A:TG_SPLIT: 0
	.section	.text._Z33subtract_left_partial_tile_kernelIsss10custom_op1Lj512ELj8EEvPKT_PiPT1_,"axG",@progbits,_Z33subtract_left_partial_tile_kernelIsss10custom_op1Lj512ELj8EEvPKT_PiPT1_,comdat
	.protected	_Z33subtract_left_partial_tile_kernelIsss10custom_op1Lj512ELj8EEvPKT_PiPT1_ ; -- Begin function _Z33subtract_left_partial_tile_kernelIsss10custom_op1Lj512ELj8EEvPKT_PiPT1_
	.globl	_Z33subtract_left_partial_tile_kernelIsss10custom_op1Lj512ELj8EEvPKT_PiPT1_
	.p2align	8
	.type	_Z33subtract_left_partial_tile_kernelIsss10custom_op1Lj512ELj8EEvPKT_PiPT1_,@function
_Z33subtract_left_partial_tile_kernelIsss10custom_op1Lj512ELj8EEvPKT_PiPT1_: ; @_Z33subtract_left_partial_tile_kernelIsss10custom_op1Lj512ELj8EEvPKT_PiPT1_
; %bb.0:
	s_load_dwordx4 s[0:3], s[4:5], 0x0
	s_load_dwordx2 s[8:9], s[4:5], 0x10
	s_lshl_b32 s10, s6, 12
	s_mov_b32 s11, 0
	s_lshl_b64 s[4:5], s[10:11], 1
	s_waitcnt lgkmcnt(0)
	s_add_u32 s12, s0, s4
	s_addc_u32 s13, s1, s5
	v_lshlrev_b32_e32 v1, 4, v0
	global_load_dwordx4 v[2:5], v1, s[12:13]
	s_mov_b32 s7, s11
	s_lshl_b64 s[12:13], s[6:7], 2
	s_add_u32 s2, s2, s12
	s_addc_u32 s3, s3, s13
	s_load_dword s2, s[2:3], 0x0
	v_lshlrev_b32_e32 v1, 3, v0
	v_lshlrev_b32_e32 v10, 1, v0
	s_bitcmp0_b32 s6, 0
	v_cmp_ne_u32_e32 vcc, 0, v0
	s_waitcnt vmcnt(0)
	v_lshrrev_b32_e32 v11, 16, v5
	s_cbranch_scc1 .LBB94_4
; %bb.1:
	s_add_i32 s10, s10, -1
	s_lshl_b64 s[6:7], s[10:11], 1
	s_add_u32 s0, s0, s6
	s_addc_u32 s1, s1, s7
	v_mov_b32_e32 v6, 0
	global_load_ushort v6, v6, s[0:1]
	ds_write_b16 v10, v11
	s_waitcnt lgkmcnt(0)
	s_barrier
	s_and_saveexec_b64 s[0:1], vcc
	s_cbranch_execz .LBB94_3
; %bb.2:
	s_waitcnt vmcnt(0)
	v_add_u32_e32 v6, -2, v10
	ds_read_u16 v6, v6
.LBB94_3:
	s_or_b64 exec, exec, s[0:1]
	v_or_b32_e32 v7, 7, v1
	v_sub_u16_sdwa v8, v11, v5 dst_sel:WORD_1 dst_unused:UNUSED_PAD src0_sel:DWORD src1_sel:DWORD
	v_lshlrev_b32_e32 v9, 16, v11
	v_cmp_gt_u32_e32 vcc, s2, v7
	v_cndmask_b32_e32 v7, v9, v8, vcc
	v_or_b32_e32 v8, 6, v1
	s_mov_b32 s0, 0xffff
	v_sub_u16_sdwa v12, v5, v4 dst_sel:DWORD dst_unused:UNUSED_PAD src0_sel:DWORD src1_sel:WORD_1
	v_bfi_b32 v9, s0, v5, v7
	v_bfi_b32 v7, s0, v12, v7
	v_cmp_gt_u32_e32 vcc, s2, v8
	v_cndmask_b32_e32 v9, v9, v7, vcc
	v_or_b32_e32 v7, 5, v1
	v_mov_b32_e32 v12, 16
	v_sub_u16_sdwa v13, v4, v4 dst_sel:DWORD dst_unused:UNUSED_PAD src0_sel:WORD_1 src1_sel:DWORD
	v_lshlrev_b32_sdwa v8, v12, v4 dst_sel:DWORD dst_unused:UNUSED_PAD src0_sel:DWORD src1_sel:WORD_1
	v_lshlrev_b32_e32 v13, 16, v13
	v_cmp_gt_u32_e32 vcc, s2, v7
	v_cndmask_b32_e32 v7, v8, v13, vcc
	v_or_b32_e32 v8, 4, v1
	v_sub_u16_sdwa v14, v4, v3 dst_sel:DWORD dst_unused:UNUSED_PAD src0_sel:DWORD src1_sel:WORD_1
	v_bfi_b32 v13, s0, v4, v7
	v_bfi_b32 v7, s0, v14, v7
	v_cmp_gt_u32_e32 vcc, s2, v8
	v_cndmask_b32_e32 v8, v13, v7, vcc
	v_or_b32_e32 v7, 3, v1
	v_sub_u16_sdwa v14, v3, v3 dst_sel:DWORD dst_unused:UNUSED_PAD src0_sel:WORD_1 src1_sel:DWORD
	v_lshlrev_b32_sdwa v13, v12, v3 dst_sel:DWORD dst_unused:UNUSED_PAD src0_sel:DWORD src1_sel:WORD_1
	v_lshlrev_b32_e32 v14, 16, v14
	v_cmp_gt_u32_e32 vcc, s2, v7
	v_cndmask_b32_e32 v7, v13, v14, vcc
	v_or_b32_e32 v13, 2, v1
	v_sub_u16_sdwa v15, v3, v2 dst_sel:DWORD dst_unused:UNUSED_PAD src0_sel:DWORD src1_sel:WORD_1
	v_bfi_b32 v14, s0, v3, v7
	v_bfi_b32 v7, s0, v15, v7
	v_cmp_gt_u32_e32 vcc, s2, v13
	v_cndmask_b32_e32 v7, v14, v7, vcc
	v_or_b32_e32 v13, 1, v1
	v_sub_u16_sdwa v14, v2, v2 dst_sel:DWORD dst_unused:UNUSED_PAD src0_sel:WORD_1 src1_sel:DWORD
	v_lshlrev_b32_sdwa v12, v12, v2 dst_sel:DWORD dst_unused:UNUSED_PAD src0_sel:DWORD src1_sel:WORD_1
	v_lshlrev_b32_e32 v14, 16, v14
	v_cmp_gt_u32_e32 vcc, s2, v13
	v_cndmask_b32_e32 v12, v12, v14, vcc
	v_cmp_gt_u32_e32 vcc, s2, v1
	s_waitcnt vmcnt(0) lgkmcnt(0)
	v_cndmask_b32_e32 v6, 0, v6, vcc
	v_sub_u16_e32 v6, v2, v6
	v_bfi_b32 v6, s0, v6, v12
	s_branch .LBB94_8
.LBB94_4:
                                        ; implicit-def: $vgpr6_vgpr7_vgpr8_vgpr9
	s_cbranch_execz .LBB94_8
; %bb.5:
	v_or_b32_e32 v6, 7, v1
	v_sub_u16_sdwa v7, v11, v5 dst_sel:WORD_1 dst_unused:UNUSED_PAD src0_sel:DWORD src1_sel:DWORD
	v_lshlrev_b32_e32 v8, 16, v11
	s_waitcnt lgkmcnt(0)
	v_cmp_gt_u32_e32 vcc, s2, v6
	v_cndmask_b32_e32 v6, v8, v7, vcc
	s_mov_b32 s3, 0xffff
	v_or_b32_e32 v7, 6, v1
	v_bfi_b32 v8, s3, v5, v6
	v_sub_u16_sdwa v5, v5, v4 dst_sel:DWORD dst_unused:UNUSED_PAD src0_sel:DWORD src1_sel:WORD_1
	v_bfi_b32 v5, s3, v5, v6
	v_cmp_gt_u32_e32 vcc, s2, v7
	v_cndmask_b32_e32 v9, v8, v5, vcc
	v_or_b32_e32 v5, 5, v1
	v_mov_b32_e32 v6, 16
	v_sub_u16_sdwa v8, v4, v4 dst_sel:DWORD dst_unused:UNUSED_PAD src0_sel:WORD_1 src1_sel:DWORD
	v_lshlrev_b32_sdwa v7, v6, v4 dst_sel:DWORD dst_unused:UNUSED_PAD src0_sel:DWORD src1_sel:WORD_1
	v_lshlrev_b32_e32 v8, 16, v8
	v_cmp_gt_u32_e32 vcc, s2, v5
	v_cndmask_b32_e32 v5, v7, v8, vcc
	v_or_b32_e32 v7, 4, v1
	v_bfi_b32 v8, s3, v4, v5
	v_sub_u16_sdwa v4, v4, v3 dst_sel:DWORD dst_unused:UNUSED_PAD src0_sel:DWORD src1_sel:WORD_1
	v_bfi_b32 v4, s3, v4, v5
	v_cmp_gt_u32_e32 vcc, s2, v7
	v_cndmask_b32_e32 v8, v8, v4, vcc
	v_or_b32_e32 v4, 3, v1
	v_sub_u16_sdwa v7, v3, v3 dst_sel:DWORD dst_unused:UNUSED_PAD src0_sel:WORD_1 src1_sel:DWORD
	v_lshlrev_b32_sdwa v5, v6, v3 dst_sel:DWORD dst_unused:UNUSED_PAD src0_sel:DWORD src1_sel:WORD_1
	v_lshlrev_b32_e32 v7, 16, v7
	v_cmp_gt_u32_e32 vcc, s2, v4
	v_cndmask_b32_e32 v4, v5, v7, vcc
	v_or_b32_e32 v5, 2, v1
	v_bfi_b32 v7, s3, v3, v4
	v_sub_u16_sdwa v3, v3, v2 dst_sel:DWORD dst_unused:UNUSED_PAD src0_sel:DWORD src1_sel:WORD_1
	v_bfi_b32 v3, s3, v3, v4
	v_cmp_gt_u32_e32 vcc, s2, v5
	v_cndmask_b32_e32 v7, v7, v3, vcc
	v_or_b32_e32 v3, 1, v1
	v_sub_u16_sdwa v5, v2, v2 dst_sel:DWORD dst_unused:UNUSED_PAD src0_sel:WORD_1 src1_sel:DWORD
	v_lshlrev_b32_sdwa v4, v6, v2 dst_sel:DWORD dst_unused:UNUSED_PAD src0_sel:DWORD src1_sel:WORD_1
	v_lshlrev_b32_e32 v5, 16, v5
	v_cmp_gt_u32_e32 vcc, s2, v3
	v_cndmask_b32_e32 v3, v4, v5, vcc
	v_cmp_ne_u32_e32 vcc, 0, v0
	v_cmp_gt_u32_e64 s[0:1], s2, v1
	v_bfi_b32 v6, s3, v2, v3
	s_and_b64 s[6:7], vcc, s[0:1]
	ds_write_b16 v10, v11
	s_waitcnt lgkmcnt(0)
	s_barrier
	s_and_saveexec_b64 s[0:1], s[6:7]
	s_cbranch_execz .LBB94_7
; %bb.6:
	v_add_u32_e32 v0, -2, v10
	ds_read_u16 v0, v0
	s_waitcnt lgkmcnt(0)
	v_sub_u16_e32 v0, v2, v0
	v_bfi_b32 v6, s3, v0, v6
.LBB94_7:
	s_or_b64 exec, exec, s[0:1]
.LBB94_8:
	s_add_u32 s0, s8, s4
	s_addc_u32 s1, s9, s5
	v_lshlrev_b32_e32 v0, 1, v1
	global_store_dwordx4 v0, v[6:9], s[0:1]
	s_endpgm
	.section	.rodata,"a",@progbits
	.p2align	6, 0x0
	.amdhsa_kernel _Z33subtract_left_partial_tile_kernelIsss10custom_op1Lj512ELj8EEvPKT_PiPT1_
		.amdhsa_group_segment_fixed_size 2048
		.amdhsa_private_segment_fixed_size 0
		.amdhsa_kernarg_size 24
		.amdhsa_user_sgpr_count 6
		.amdhsa_user_sgpr_private_segment_buffer 1
		.amdhsa_user_sgpr_dispatch_ptr 0
		.amdhsa_user_sgpr_queue_ptr 0
		.amdhsa_user_sgpr_kernarg_segment_ptr 1
		.amdhsa_user_sgpr_dispatch_id 0
		.amdhsa_user_sgpr_flat_scratch_init 0
		.amdhsa_user_sgpr_kernarg_preload_length 0
		.amdhsa_user_sgpr_kernarg_preload_offset 0
		.amdhsa_user_sgpr_private_segment_size 0
		.amdhsa_uses_dynamic_stack 0
		.amdhsa_system_sgpr_private_segment_wavefront_offset 0
		.amdhsa_system_sgpr_workgroup_id_x 1
		.amdhsa_system_sgpr_workgroup_id_y 0
		.amdhsa_system_sgpr_workgroup_id_z 0
		.amdhsa_system_sgpr_workgroup_info 0
		.amdhsa_system_vgpr_workitem_id 0
		.amdhsa_next_free_vgpr 16
		.amdhsa_next_free_sgpr 14
		.amdhsa_accum_offset 16
		.amdhsa_reserve_vcc 1
		.amdhsa_reserve_flat_scratch 0
		.amdhsa_float_round_mode_32 0
		.amdhsa_float_round_mode_16_64 0
		.amdhsa_float_denorm_mode_32 3
		.amdhsa_float_denorm_mode_16_64 3
		.amdhsa_dx10_clamp 1
		.amdhsa_ieee_mode 1
		.amdhsa_fp16_overflow 0
		.amdhsa_tg_split 0
		.amdhsa_exception_fp_ieee_invalid_op 0
		.amdhsa_exception_fp_denorm_src 0
		.amdhsa_exception_fp_ieee_div_zero 0
		.amdhsa_exception_fp_ieee_overflow 0
		.amdhsa_exception_fp_ieee_underflow 0
		.amdhsa_exception_fp_ieee_inexact 0
		.amdhsa_exception_int_div_zero 0
	.end_amdhsa_kernel
	.section	.text._Z33subtract_left_partial_tile_kernelIsss10custom_op1Lj512ELj8EEvPKT_PiPT1_,"axG",@progbits,_Z33subtract_left_partial_tile_kernelIsss10custom_op1Lj512ELj8EEvPKT_PiPT1_,comdat
.Lfunc_end94:
	.size	_Z33subtract_left_partial_tile_kernelIsss10custom_op1Lj512ELj8EEvPKT_PiPT1_, .Lfunc_end94-_Z33subtract_left_partial_tile_kernelIsss10custom_op1Lj512ELj8EEvPKT_PiPT1_
                                        ; -- End function
	.section	.AMDGPU.csdata,"",@progbits
; Kernel info:
; codeLenInByte = 796
; NumSgprs: 18
; NumVgprs: 16
; NumAgprs: 0
; TotalNumVgprs: 16
; ScratchSize: 0
; MemoryBound: 0
; FloatMode: 240
; IeeeMode: 1
; LDSByteSize: 2048 bytes/workgroup (compile time only)
; SGPRBlocks: 2
; VGPRBlocks: 1
; NumSGPRsForWavesPerEU: 18
; NumVGPRsForWavesPerEU: 16
; AccumOffset: 16
; Occupancy: 8
; WaveLimiterHint : 0
; COMPUTE_PGM_RSRC2:SCRATCH_EN: 0
; COMPUTE_PGM_RSRC2:USER_SGPR: 6
; COMPUTE_PGM_RSRC2:TRAP_HANDLER: 0
; COMPUTE_PGM_RSRC2:TGID_X_EN: 1
; COMPUTE_PGM_RSRC2:TGID_Y_EN: 0
; COMPUTE_PGM_RSRC2:TGID_Z_EN: 0
; COMPUTE_PGM_RSRC2:TIDIG_COMP_CNT: 0
; COMPUTE_PGM_RSRC3_GFX90A:ACCUM_OFFSET: 3
; COMPUTE_PGM_RSRC3_GFX90A:TG_SPLIT: 0
	.section	.text._Z33subtract_left_partial_tile_kernelIthhN6hipcub3SumELj256ELj7EEvPKT_PiPT1_,"axG",@progbits,_Z33subtract_left_partial_tile_kernelIthhN6hipcub3SumELj256ELj7EEvPKT_PiPT1_,comdat
	.protected	_Z33subtract_left_partial_tile_kernelIthhN6hipcub3SumELj256ELj7EEvPKT_PiPT1_ ; -- Begin function _Z33subtract_left_partial_tile_kernelIthhN6hipcub3SumELj256ELj7EEvPKT_PiPT1_
	.globl	_Z33subtract_left_partial_tile_kernelIthhN6hipcub3SumELj256ELj7EEvPKT_PiPT1_
	.p2align	8
	.type	_Z33subtract_left_partial_tile_kernelIthhN6hipcub3SumELj256ELj7EEvPKT_PiPT1_,@function
_Z33subtract_left_partial_tile_kernelIthhN6hipcub3SumELj256ELj7EEvPKT_PiPT1_: ; @_Z33subtract_left_partial_tile_kernelIthhN6hipcub3SumELj256ELj7EEvPKT_PiPT1_
; %bb.0:
	s_load_dwordx4 s[0:3], s[4:5], 0x0
	s_load_dwordx2 s[8:9], s[4:5], 0x10
	s_mul_i32 s4, s6, 0x700
	s_mov_b32 s5, 0
	s_lshl_b64 s[10:11], s[4:5], 1
	s_waitcnt lgkmcnt(0)
	s_add_u32 s10, s0, s10
	v_mul_u32_u24_e32 v1, 7, v0
	s_addc_u32 s11, s1, s11
	v_lshlrev_b32_e32 v5, 1, v1
	global_load_ushort v8, v5, s[10:11] offset:12
	global_load_dwordx3 v[2:4], v5, s[10:11]
	s_mov_b32 s7, s5
	s_lshl_b64 s[10:11], s[6:7], 2
	s_add_u32 s2, s2, s10
	s_addc_u32 s3, s3, s11
	s_load_dword s2, s[2:3], 0x0
	s_bitcmp0_b32 s6, 0
	v_lshlrev_b32_e32 v5, 1, v0
	v_cmp_ne_u32_e32 vcc, 0, v0
	s_cbranch_scc1 .LBB95_4
; %bb.1:
	s_add_i32 s6, s4, -1
	s_mov_b32 s7, s5
	s_lshl_b64 s[6:7], s[6:7], 1
	s_add_u32 s0, s0, s6
	s_addc_u32 s1, s1, s7
	v_mov_b32_e32 v6, 0
	global_load_ushort v6, v6, s[0:1]
	s_waitcnt vmcnt(2)
	ds_write_b16 v5, v8
	s_waitcnt lgkmcnt(0)
	s_barrier
	s_and_saveexec_b64 s[0:1], vcc
	s_cbranch_execz .LBB95_3
; %bb.2:
	s_waitcnt vmcnt(0)
	v_add_u32_e32 v6, -2, v5
	ds_read_u16 v6, v6
.LBB95_3:
	s_or_b64 exec, exec, s[0:1]
	s_waitcnt vmcnt(1)
	v_add_u16_sdwa v10, v8, v4 dst_sel:DWORD dst_unused:UNUSED_PAD src0_sel:DWORD src1_sel:WORD_1
	v_add_u32_e32 v7, 6, v1
	v_and_b32_e32 v9, 0xff, v8
	v_and_b32_e32 v10, 0xff, v10
	v_lshlrev_b32_e32 v9, 16, v9
	v_lshlrev_b32_e32 v10, 16, v10
	v_cmp_gt_u32_e32 vcc, s2, v7
	v_cndmask_b32_e32 v7, v9, v10, vcc
	v_add_u32_e32 v9, 5, v1
	v_mov_b32_e32 v10, 8
	v_add_u16_sdwa v12, v4, v4 dst_sel:DWORD dst_unused:UNUSED_PAD src0_sel:WORD_1 src1_sel:DWORD
	v_lshlrev_b16_sdwa v11, v10, v4 dst_sel:DWORD dst_unused:UNUSED_PAD src0_sel:DWORD src1_sel:WORD_1
	v_lshlrev_b16_e32 v12, 8, v12
	v_cmp_gt_u32_e32 vcc, s2, v9
	v_cndmask_b32_e32 v9, v11, v12, vcc
	v_add_u16_sdwa v11, v4, v3 dst_sel:DWORD dst_unused:UNUSED_PAD src0_sel:DWORD src1_sel:WORD_1
	v_or_b32_sdwa v11, v11, v9 dst_sel:DWORD dst_unused:UNUSED_PAD src0_sel:BYTE_0 src1_sel:DWORD
	v_or_b32_sdwa v9, v4, v9 dst_sel:DWORD dst_unused:UNUSED_PAD src0_sel:BYTE_0 src1_sel:DWORD
	v_add_u32_e32 v12, 4, v1
	v_and_b32_e32 v9, 0xffff, v9
	v_and_b32_e32 v11, 0xffff, v11
	v_cmp_gt_u32_e32 vcc, s2, v12
	v_add_u32_e32 v12, 3, v1
	v_add_u16_sdwa v14, v3, v3 dst_sel:DWORD dst_unused:UNUSED_PAD src0_sel:WORD_1 src1_sel:DWORD
	v_cndmask_b32_e32 v9, v9, v11, vcc
	v_lshlrev_b16_sdwa v13, v10, v3 dst_sel:DWORD dst_unused:UNUSED_PAD src0_sel:DWORD src1_sel:WORD_1
	v_lshlrev_b16_e32 v14, 8, v14
	v_cmp_gt_u32_e32 vcc, s2, v12
	v_cndmask_b32_e32 v12, v13, v14, vcc
	v_add_u16_sdwa v13, v3, v2 dst_sel:DWORD dst_unused:UNUSED_PAD src0_sel:DWORD src1_sel:WORD_1
	v_add_u32_e32 v14, 2, v1
	v_or_b32_sdwa v13, v13, v12 dst_sel:DWORD dst_unused:UNUSED_PAD src0_sel:BYTE_0 src1_sel:DWORD
	v_or_b32_sdwa v12, v3, v12 dst_sel:DWORD dst_unused:UNUSED_PAD src0_sel:BYTE_0 src1_sel:DWORD
	v_cmp_gt_u32_e32 vcc, s2, v14
	v_cndmask_b32_e32 v12, v12, v13, vcc
	v_add_u32_e32 v13, 1, v1
	v_add_u16_sdwa v15, v2, v2 dst_sel:DWORD dst_unused:UNUSED_PAD src0_sel:WORD_1 src1_sel:DWORD
	v_lshlrev_b16_sdwa v14, v10, v2 dst_sel:DWORD dst_unused:UNUSED_PAD src0_sel:DWORD src1_sel:WORD_1
	v_lshlrev_b16_e32 v15, 8, v15
	v_cmp_gt_u32_e32 vcc, s2, v13
	v_cndmask_b32_e32 v13, v14, v15, vcc
	s_waitcnt vmcnt(0) lgkmcnt(0)
	v_add_u16_e32 v6, v6, v2
	v_or_b32_e32 v11, v9, v7
	v_or_b32_sdwa v6, v6, v13 dst_sel:DWORD dst_unused:UNUSED_PAD src0_sel:BYTE_0 src1_sel:DWORD
	v_or_b32_sdwa v13, v2, v13 dst_sel:DWORD dst_unused:UNUSED_PAD src0_sel:BYTE_0 src1_sel:DWORD
	v_and_b32_e32 v13, 0xffff, v13
	v_and_b32_e32 v6, 0xffff, v6
	v_cmp_gt_u32_e32 vcc, s2, v1
	v_lshrrev_b32_sdwa v10, v10, v11 dst_sel:BYTE_1 dst_unused:UNUSED_PAD src0_sel:DWORD src1_sel:DWORD
	v_cndmask_b32_e32 v6, v13, v6, vcc
	v_or_b32_sdwa v9, v9, v10 dst_sel:DWORD dst_unused:UNUSED_PAD src0_sel:BYTE_0 src1_sel:DWORD
	v_lshl_or_b32 v6, v12, 16, v6
	v_and_b32_e32 v9, 0xffff, v9
	v_bfe_u32 v7, v7, 16, 8
	s_mov_b32 s0, 0x3020104
	v_lshl_or_b32 v7, v7, 16, v9
	v_perm_b32 v6, v6, v6, s0
	s_branch .LBB95_8
.LBB95_4:
                                        ; implicit-def: $vgpr6_vgpr7
	s_cbranch_execz .LBB95_8
; %bb.5:
	s_waitcnt vmcnt(1)
	ds_write_b16 v5, v8
	v_and_b32_e32 v7, 0xff, v8
	s_waitcnt vmcnt(0)
	v_add_u16_sdwa v8, v8, v4 dst_sel:DWORD dst_unused:UNUSED_PAD src0_sel:DWORD src1_sel:WORD_1
	v_add_u32_e32 v6, 6, v1
	v_and_b32_e32 v8, 0xff, v8
	v_lshlrev_b32_e32 v7, 16, v7
	v_lshlrev_b32_e32 v8, 16, v8
	s_waitcnt lgkmcnt(0)
	v_cmp_gt_u32_e32 vcc, s2, v6
	v_cndmask_b32_e32 v6, v7, v8, vcc
	v_add_u32_e32 v7, 5, v1
	v_mov_b32_e32 v8, 8
	v_add_u16_sdwa v10, v4, v4 dst_sel:DWORD dst_unused:UNUSED_PAD src0_sel:WORD_1 src1_sel:DWORD
	v_lshlrev_b16_sdwa v9, v8, v4 dst_sel:DWORD dst_unused:UNUSED_PAD src0_sel:DWORD src1_sel:WORD_1
	v_lshlrev_b16_e32 v10, 8, v10
	v_cmp_gt_u32_e32 vcc, s2, v7
	v_cndmask_b32_e32 v7, v9, v10, vcc
	v_add_u16_sdwa v9, v4, v3 dst_sel:DWORD dst_unused:UNUSED_PAD src0_sel:DWORD src1_sel:WORD_1
	v_or_b32_sdwa v9, v9, v7 dst_sel:DWORD dst_unused:UNUSED_PAD src0_sel:BYTE_0 src1_sel:DWORD
	v_or_b32_sdwa v4, v4, v7 dst_sel:DWORD dst_unused:UNUSED_PAD src0_sel:BYTE_0 src1_sel:DWORD
	v_add_u32_e32 v7, 4, v1
	v_and_b32_e32 v4, 0xffff, v4
	v_and_b32_e32 v9, 0xffff, v9
	v_cmp_gt_u32_e32 vcc, s2, v7
	v_cndmask_b32_e32 v4, v4, v9, vcc
	v_add_u32_e32 v9, 3, v1
	v_add_u16_sdwa v11, v3, v3 dst_sel:DWORD dst_unused:UNUSED_PAD src0_sel:WORD_1 src1_sel:DWORD
	v_lshlrev_b16_sdwa v10, v8, v3 dst_sel:DWORD dst_unused:UNUSED_PAD src0_sel:DWORD src1_sel:WORD_1
	v_lshlrev_b16_e32 v11, 8, v11
	v_cmp_gt_u32_e32 vcc, s2, v9
	v_cndmask_b32_e32 v9, v10, v11, vcc
	v_add_u16_sdwa v10, v3, v2 dst_sel:DWORD dst_unused:UNUSED_PAD src0_sel:DWORD src1_sel:WORD_1
	v_or_b32_sdwa v10, v10, v9 dst_sel:DWORD dst_unused:UNUSED_PAD src0_sel:BYTE_0 src1_sel:DWORD
	v_or_b32_sdwa v3, v3, v9 dst_sel:DWORD dst_unused:UNUSED_PAD src0_sel:BYTE_0 src1_sel:DWORD
	v_add_u32_e32 v9, 2, v1
	v_or_b32_e32 v7, v4, v6
	v_cmp_gt_u32_e32 vcc, s2, v9
	v_add_u32_e32 v9, 1, v1
	v_add_u16_sdwa v11, v2, v2 dst_sel:DWORD dst_unused:UNUSED_PAD src0_sel:WORD_1 src1_sel:DWORD
	v_cndmask_b32_e32 v3, v3, v10, vcc
	v_lshlrev_b16_sdwa v10, v8, v2 dst_sel:DWORD dst_unused:UNUSED_PAD src0_sel:DWORD src1_sel:WORD_1
	v_lshlrev_b16_e32 v11, 8, v11
	v_cmp_gt_u32_e32 vcc, s2, v9
	v_lshrrev_b32_sdwa v7, v8, v7 dst_sel:BYTE_1 dst_unused:UNUSED_PAD src0_sel:DWORD src1_sel:DWORD
	v_cndmask_b32_e32 v9, v10, v11, vcc
	v_or_b32_sdwa v4, v4, v7 dst_sel:DWORD dst_unused:UNUSED_PAD src0_sel:BYTE_0 src1_sel:DWORD
	v_lshl_or_b32 v3, v3, 16, v9
	v_and_b32_e32 v4, 0xffff, v4
	v_bfe_u32 v6, v6, 16, 8
	s_mov_b32 s3, 0x3020104
	v_cmp_ne_u32_e32 vcc, 0, v0
	v_cmp_gt_u32_e64 s[0:1], s2, v1
	v_lshl_or_b32 v7, v6, 16, v4
	v_perm_b32 v6, v2, v3, s3
	s_and_b64 s[6:7], vcc, s[0:1]
	s_barrier
	s_and_saveexec_b64 s[0:1], s[6:7]
	s_cbranch_execz .LBB95_7
; %bb.6:
	v_add_u32_e32 v0, -2, v5
	ds_read_u8 v0, v0
	v_lshrrev_b32_sdwa v3, v8, v7 dst_sel:BYTE_1 dst_unused:UNUSED_PAD src0_sel:DWORD src1_sel:DWORD
	v_or_b32_sdwa v3, v7, v3 dst_sel:DWORD dst_unused:UNUSED_PAD src0_sel:BYTE_0 src1_sel:DWORD
	v_bfe_u32 v4, v7, 16, 8
	v_and_b32_e32 v3, 0xffff, v3
	s_waitcnt lgkmcnt(0)
	v_add_u16_e32 v0, v0, v2
	v_lshl_or_b32 v7, v4, 16, v3
	v_perm_b32 v6, v0, v6, s3
.LBB95_7:
	s_or_b64 exec, exec, s[0:1]
.LBB95_8:
	s_add_u32 s0, s8, s4
	s_addc_u32 s1, s9, 0
	s_waitcnt vmcnt(0)
	v_mov_b32_e32 v2, s1
	v_add_co_u32_e32 v0, vcc, s0, v1
	v_addc_co_u32_e32 v1, vcc, 0, v2, vcc
	global_store_byte_d16_hi v[0:1], v7, off offset:6
	global_store_short v[0:1], v7, off offset:4
	global_store_dword v[0:1], v6, off
	s_endpgm
	.section	.rodata,"a",@progbits
	.p2align	6, 0x0
	.amdhsa_kernel _Z33subtract_left_partial_tile_kernelIthhN6hipcub3SumELj256ELj7EEvPKT_PiPT1_
		.amdhsa_group_segment_fixed_size 1024
		.amdhsa_private_segment_fixed_size 0
		.amdhsa_kernarg_size 24
		.amdhsa_user_sgpr_count 6
		.amdhsa_user_sgpr_private_segment_buffer 1
		.amdhsa_user_sgpr_dispatch_ptr 0
		.amdhsa_user_sgpr_queue_ptr 0
		.amdhsa_user_sgpr_kernarg_segment_ptr 1
		.amdhsa_user_sgpr_dispatch_id 0
		.amdhsa_user_sgpr_flat_scratch_init 0
		.amdhsa_user_sgpr_kernarg_preload_length 0
		.amdhsa_user_sgpr_kernarg_preload_offset 0
		.amdhsa_user_sgpr_private_segment_size 0
		.amdhsa_uses_dynamic_stack 0
		.amdhsa_system_sgpr_private_segment_wavefront_offset 0
		.amdhsa_system_sgpr_workgroup_id_x 1
		.amdhsa_system_sgpr_workgroup_id_y 0
		.amdhsa_system_sgpr_workgroup_id_z 0
		.amdhsa_system_sgpr_workgroup_info 0
		.amdhsa_system_vgpr_workitem_id 0
		.amdhsa_next_free_vgpr 16
		.amdhsa_next_free_sgpr 12
		.amdhsa_accum_offset 16
		.amdhsa_reserve_vcc 1
		.amdhsa_reserve_flat_scratch 0
		.amdhsa_float_round_mode_32 0
		.amdhsa_float_round_mode_16_64 0
		.amdhsa_float_denorm_mode_32 3
		.amdhsa_float_denorm_mode_16_64 3
		.amdhsa_dx10_clamp 1
		.amdhsa_ieee_mode 1
		.amdhsa_fp16_overflow 0
		.amdhsa_tg_split 0
		.amdhsa_exception_fp_ieee_invalid_op 0
		.amdhsa_exception_fp_denorm_src 0
		.amdhsa_exception_fp_ieee_div_zero 0
		.amdhsa_exception_fp_ieee_overflow 0
		.amdhsa_exception_fp_ieee_underflow 0
		.amdhsa_exception_fp_ieee_inexact 0
		.amdhsa_exception_int_div_zero 0
	.end_amdhsa_kernel
	.section	.text._Z33subtract_left_partial_tile_kernelIthhN6hipcub3SumELj256ELj7EEvPKT_PiPT1_,"axG",@progbits,_Z33subtract_left_partial_tile_kernelIthhN6hipcub3SumELj256ELj7EEvPKT_PiPT1_,comdat
.Lfunc_end95:
	.size	_Z33subtract_left_partial_tile_kernelIthhN6hipcub3SumELj256ELj7EEvPKT_PiPT1_, .Lfunc_end95-_Z33subtract_left_partial_tile_kernelIthhN6hipcub3SumELj256ELj7EEvPKT_PiPT1_
                                        ; -- End function
	.section	.AMDGPU.csdata,"",@progbits
; Kernel info:
; codeLenInByte = 1020
; NumSgprs: 16
; NumVgprs: 16
; NumAgprs: 0
; TotalNumVgprs: 16
; ScratchSize: 0
; MemoryBound: 0
; FloatMode: 240
; IeeeMode: 1
; LDSByteSize: 1024 bytes/workgroup (compile time only)
; SGPRBlocks: 1
; VGPRBlocks: 1
; NumSGPRsForWavesPerEU: 16
; NumVGPRsForWavesPerEU: 16
; AccumOffset: 16
; Occupancy: 8
; WaveLimiterHint : 0
; COMPUTE_PGM_RSRC2:SCRATCH_EN: 0
; COMPUTE_PGM_RSRC2:USER_SGPR: 6
; COMPUTE_PGM_RSRC2:TRAP_HANDLER: 0
; COMPUTE_PGM_RSRC2:TGID_X_EN: 1
; COMPUTE_PGM_RSRC2:TGID_Y_EN: 0
; COMPUTE_PGM_RSRC2:TGID_Z_EN: 0
; COMPUTE_PGM_RSRC2:TIDIG_COMP_CNT: 0
; COMPUTE_PGM_RSRC3_GFX90A:ACCUM_OFFSET: 3
; COMPUTE_PGM_RSRC3_GFX90A:TG_SPLIT: 0
	.section	.text._Z33subtract_left_partial_tile_kernelIiss10custom_op2Lj128ELj4EEvPKT_PiPT1_,"axG",@progbits,_Z33subtract_left_partial_tile_kernelIiss10custom_op2Lj128ELj4EEvPKT_PiPT1_,comdat
	.protected	_Z33subtract_left_partial_tile_kernelIiss10custom_op2Lj128ELj4EEvPKT_PiPT1_ ; -- Begin function _Z33subtract_left_partial_tile_kernelIiss10custom_op2Lj128ELj4EEvPKT_PiPT1_
	.globl	_Z33subtract_left_partial_tile_kernelIiss10custom_op2Lj128ELj4EEvPKT_PiPT1_
	.p2align	8
	.type	_Z33subtract_left_partial_tile_kernelIiss10custom_op2Lj128ELj4EEvPKT_PiPT1_,@function
_Z33subtract_left_partial_tile_kernelIiss10custom_op2Lj128ELj4EEvPKT_PiPT1_: ; @_Z33subtract_left_partial_tile_kernelIiss10custom_op2Lj128ELj4EEvPKT_PiPT1_
; %bb.0:
	s_load_dwordx4 s[0:3], s[4:5], 0x0
	s_load_dwordx2 s[8:9], s[4:5], 0x10
	s_lshl_b32 s4, s6, 9
	s_mov_b32 s5, 0
	s_lshl_b64 s[10:11], s[4:5], 2
	s_waitcnt lgkmcnt(0)
	s_add_u32 s10, s0, s10
	s_addc_u32 s11, s1, s11
	v_lshlrev_b32_e32 v1, 4, v0
	global_load_dwordx4 v[2:5], v1, s[10:11]
	s_mov_b32 s7, s5
	s_lshl_b64 s[10:11], s[6:7], 2
	s_add_u32 s2, s2, s10
	s_addc_u32 s3, s3, s11
	s_load_dword s2, s[2:3], 0x0
	v_lshlrev_b32_e32 v1, 2, v0
	s_bitcmp0_b32 s6, 0
	v_cmp_ne_u32_e32 vcc, 0, v0
	s_cbranch_scc1 .LBB96_4
; %bb.1:
	s_add_i32 s6, s4, -1
	s_mov_b32 s7, s5
	s_lshl_b64 s[6:7], s[6:7], 2
	s_add_u32 s0, s0, s6
	s_addc_u32 s1, s1, s7
	s_load_dword s0, s[0:1], 0x0
	s_waitcnt vmcnt(0)
	ds_write_b32 v1, v5
	s_waitcnt lgkmcnt(0)
	s_barrier
	v_mov_b32_e32 v6, s0
	s_and_saveexec_b64 s[0:1], vcc
	s_cbranch_execz .LBB96_3
; %bb.2:
	v_add_u32_e32 v6, -4, v1
	ds_read_b32 v6, v6
.LBB96_3:
	s_or_b64 exec, exec, s[0:1]
	v_or_b32_e32 v7, 3, v1
	v_lshlrev_b32_e32 v9, 1, v4
	v_lshlrev_b32_e32 v8, 16, v5
	v_sub_u32_sdwa v9, v9, v5 dst_sel:WORD_1 dst_unused:UNUSED_PAD src0_sel:DWORD src1_sel:DWORD
	v_cmp_gt_u32_e32 vcc, s2, v7
	v_lshlrev_b32_e32 v10, 1, v3
	v_cndmask_b32_e32 v7, v8, v9, vcc
	v_or_b32_e32 v8, 2, v1
	s_mov_b32 s0, 0xffff
	v_sub_u32_e32 v10, v10, v4
	v_bfi_b32 v9, s0, v4, v7
	v_bfi_b32 v7, s0, v10, v7
	v_cmp_gt_u32_e32 vcc, s2, v8
	v_or_b32_e32 v8, 1, v1
	v_lshlrev_b32_e32 v10, 1, v2
	v_cndmask_b32_e32 v7, v9, v7, vcc
	v_lshlrev_b32_e32 v9, 16, v3
	v_sub_u32_sdwa v10, v10, v3 dst_sel:WORD_1 dst_unused:UNUSED_PAD src0_sel:DWORD src1_sel:DWORD
	v_cmp_gt_u32_e32 vcc, s2, v8
	s_waitcnt lgkmcnt(0)
	v_lshlrev_b32_e32 v6, 1, v6
	v_cndmask_b32_e32 v8, v9, v10, vcc
	v_sub_u32_e32 v6, v6, v2
	v_cmp_gt_u32_e32 vcc, s2, v1
	v_cndmask_b32_e32 v6, v2, v6, vcc
	v_bfi_b32 v6, s0, v6, v8
	s_branch .LBB96_8
.LBB96_4:
                                        ; implicit-def: $vgpr6_vgpr7
	s_cbranch_execz .LBB96_8
; %bb.5:
	v_or_b32_e32 v6, 3, v1
	s_waitcnt vmcnt(0)
	v_lshlrev_b32_e32 v8, 1, v4
	ds_write_b32 v1, v5
	v_lshlrev_b32_e32 v7, 16, v5
	v_sub_u32_sdwa v5, v8, v5 dst_sel:WORD_1 dst_unused:UNUSED_PAD src0_sel:DWORD src1_sel:DWORD
	s_waitcnt lgkmcnt(0)
	v_cmp_gt_u32_e32 vcc, s2, v6
	v_cndmask_b32_e32 v5, v7, v5, vcc
	s_mov_b32 s3, 0xffff
	v_lshlrev_b32_e32 v8, 1, v3
	v_or_b32_e32 v6, 2, v1
	v_bfi_b32 v7, s3, v4, v5
	v_sub_u32_e32 v4, v8, v4
	v_bfi_b32 v4, s3, v4, v5
	v_cmp_gt_u32_e32 vcc, s2, v6
	v_cndmask_b32_e32 v7, v7, v4, vcc
	v_or_b32_e32 v4, 1, v1
	v_lshlrev_b32_e32 v6, 1, v2
	v_lshlrev_b32_e32 v5, 16, v3
	v_sub_u32_sdwa v3, v6, v3 dst_sel:WORD_1 dst_unused:UNUSED_PAD src0_sel:DWORD src1_sel:DWORD
	v_cmp_gt_u32_e32 vcc, s2, v4
	v_cndmask_b32_e32 v3, v5, v3, vcc
	v_cmp_ne_u32_e32 vcc, 0, v0
	v_cmp_gt_u32_e64 s[0:1], s2, v1
	v_bfi_b32 v6, s3, v2, v3
	s_and_b64 s[6:7], vcc, s[0:1]
	s_barrier
	s_and_saveexec_b64 s[0:1], s[6:7]
	s_cbranch_execz .LBB96_7
; %bb.6:
	v_add_u32_e32 v0, -4, v1
	ds_read_b32 v0, v0
	s_waitcnt lgkmcnt(0)
	v_lshlrev_b32_e32 v0, 1, v0
	v_sub_u32_e32 v0, v0, v2
	v_bfi_b32 v6, s3, v0, v6
.LBB96_7:
	s_or_b64 exec, exec, s[0:1]
.LBB96_8:
	s_lshl_b64 s[0:1], s[4:5], 1
	s_add_u32 s0, s8, s0
	s_addc_u32 s1, s9, s1
	v_lshlrev_b32_e32 v0, 1, v1
	global_store_dwordx2 v0, v[6:7], s[0:1]
	s_endpgm
	.section	.rodata,"a",@progbits
	.p2align	6, 0x0
	.amdhsa_kernel _Z33subtract_left_partial_tile_kernelIiss10custom_op2Lj128ELj4EEvPKT_PiPT1_
		.amdhsa_group_segment_fixed_size 1024
		.amdhsa_private_segment_fixed_size 0
		.amdhsa_kernarg_size 24
		.amdhsa_user_sgpr_count 6
		.amdhsa_user_sgpr_private_segment_buffer 1
		.amdhsa_user_sgpr_dispatch_ptr 0
		.amdhsa_user_sgpr_queue_ptr 0
		.amdhsa_user_sgpr_kernarg_segment_ptr 1
		.amdhsa_user_sgpr_dispatch_id 0
		.amdhsa_user_sgpr_flat_scratch_init 0
		.amdhsa_user_sgpr_kernarg_preload_length 0
		.amdhsa_user_sgpr_kernarg_preload_offset 0
		.amdhsa_user_sgpr_private_segment_size 0
		.amdhsa_uses_dynamic_stack 0
		.amdhsa_system_sgpr_private_segment_wavefront_offset 0
		.amdhsa_system_sgpr_workgroup_id_x 1
		.amdhsa_system_sgpr_workgroup_id_y 0
		.amdhsa_system_sgpr_workgroup_id_z 0
		.amdhsa_system_sgpr_workgroup_info 0
		.amdhsa_system_vgpr_workitem_id 0
		.amdhsa_next_free_vgpr 11
		.amdhsa_next_free_sgpr 12
		.amdhsa_accum_offset 12
		.amdhsa_reserve_vcc 1
		.amdhsa_reserve_flat_scratch 0
		.amdhsa_float_round_mode_32 0
		.amdhsa_float_round_mode_16_64 0
		.amdhsa_float_denorm_mode_32 3
		.amdhsa_float_denorm_mode_16_64 3
		.amdhsa_dx10_clamp 1
		.amdhsa_ieee_mode 1
		.amdhsa_fp16_overflow 0
		.amdhsa_tg_split 0
		.amdhsa_exception_fp_ieee_invalid_op 0
		.amdhsa_exception_fp_denorm_src 0
		.amdhsa_exception_fp_ieee_div_zero 0
		.amdhsa_exception_fp_ieee_overflow 0
		.amdhsa_exception_fp_ieee_underflow 0
		.amdhsa_exception_fp_ieee_inexact 0
		.amdhsa_exception_int_div_zero 0
	.end_amdhsa_kernel
	.section	.text._Z33subtract_left_partial_tile_kernelIiss10custom_op2Lj128ELj4EEvPKT_PiPT1_,"axG",@progbits,_Z33subtract_left_partial_tile_kernelIiss10custom_op2Lj128ELj4EEvPKT_PiPT1_,comdat
.Lfunc_end96:
	.size	_Z33subtract_left_partial_tile_kernelIiss10custom_op2Lj128ELj4EEvPKT_PiPT1_, .Lfunc_end96-_Z33subtract_left_partial_tile_kernelIiss10custom_op2Lj128ELj4EEvPKT_PiPT1_
                                        ; -- End function
	.section	.AMDGPU.csdata,"",@progbits
; Kernel info:
; codeLenInByte = 520
; NumSgprs: 16
; NumVgprs: 11
; NumAgprs: 0
; TotalNumVgprs: 11
; ScratchSize: 0
; MemoryBound: 0
; FloatMode: 240
; IeeeMode: 1
; LDSByteSize: 1024 bytes/workgroup (compile time only)
; SGPRBlocks: 1
; VGPRBlocks: 1
; NumSGPRsForWavesPerEU: 16
; NumVGPRsForWavesPerEU: 11
; AccumOffset: 12
; Occupancy: 8
; WaveLimiterHint : 0
; COMPUTE_PGM_RSRC2:SCRATCH_EN: 0
; COMPUTE_PGM_RSRC2:USER_SGPR: 6
; COMPUTE_PGM_RSRC2:TRAP_HANDLER: 0
; COMPUTE_PGM_RSRC2:TGID_X_EN: 1
; COMPUTE_PGM_RSRC2:TGID_Y_EN: 0
; COMPUTE_PGM_RSRC2:TGID_Z_EN: 0
; COMPUTE_PGM_RSRC2:TIDIG_COMP_CNT: 0
; COMPUTE_PGM_RSRC3_GFX90A:ACCUM_OFFSET: 2
; COMPUTE_PGM_RSRC3_GFX90A:TG_SPLIT: 0
	.section	.text._Z33subtract_left_partial_tile_kernelIicc10custom_op1Lj64ELj2EEvPKT_PiPT1_,"axG",@progbits,_Z33subtract_left_partial_tile_kernelIicc10custom_op1Lj64ELj2EEvPKT_PiPT1_,comdat
	.protected	_Z33subtract_left_partial_tile_kernelIicc10custom_op1Lj64ELj2EEvPKT_PiPT1_ ; -- Begin function _Z33subtract_left_partial_tile_kernelIicc10custom_op1Lj64ELj2EEvPKT_PiPT1_
	.globl	_Z33subtract_left_partial_tile_kernelIicc10custom_op1Lj64ELj2EEvPKT_PiPT1_
	.p2align	8
	.type	_Z33subtract_left_partial_tile_kernelIicc10custom_op1Lj64ELj2EEvPKT_PiPT1_,@function
_Z33subtract_left_partial_tile_kernelIicc10custom_op1Lj64ELj2EEvPKT_PiPT1_: ; @_Z33subtract_left_partial_tile_kernelIicc10custom_op1Lj64ELj2EEvPKT_PiPT1_
; %bb.0:
	s_load_dwordx4 s[0:3], s[4:5], 0x0
	s_load_dwordx2 s[8:9], s[4:5], 0x10
	s_lshl_b32 s4, s6, 7
	s_mov_b32 s5, 0
	s_lshl_b64 s[10:11], s[4:5], 2
	s_waitcnt lgkmcnt(0)
	s_add_u32 s10, s0, s10
	s_addc_u32 s11, s1, s11
	v_lshlrev_b32_e32 v1, 3, v0
	global_load_dwordx2 v[2:3], v1, s[10:11]
	s_mov_b32 s7, s5
	s_lshl_b64 s[10:11], s[6:7], 2
	s_add_u32 s2, s2, s10
	s_addc_u32 s3, s3, s11
	s_load_dword s2, s[2:3], 0x0
	v_lshlrev_b32_e32 v1, 1, v0
	s_bitcmp0_b32 s6, 0
	v_lshlrev_b32_e32 v4, 2, v0
	v_cmp_ne_u32_e32 vcc, 0, v0
	s_cbranch_scc1 .LBB97_4
; %bb.1:
	s_add_i32 s6, s4, -1
	s_mov_b32 s7, s5
	s_lshl_b64 s[6:7], s[6:7], 2
	s_add_u32 s0, s0, s6
	s_addc_u32 s1, s1, s7
	s_load_dword s0, s[0:1], 0x0
	s_waitcnt vmcnt(0)
	ds_write_b32 v4, v3
	s_waitcnt lgkmcnt(0)
	; wave barrier
	s_waitcnt lgkmcnt(0)
	v_mov_b32_e32 v5, s0
	s_and_saveexec_b64 s[0:1], vcc
	s_cbranch_execz .LBB97_3
; %bb.2:
	v_add_u32_e32 v5, -4, v4
	ds_read_b32 v5, v5
.LBB97_3:
	s_or_b64 exec, exec, s[0:1]
	v_or_b32_e32 v6, 1, v1
	v_lshlrev_b16_e32 v7, 8, v3
	v_sub_u32_sdwa v8, v3, v2 dst_sel:BYTE_1 dst_unused:UNUSED_PAD src0_sel:DWORD src1_sel:DWORD
	v_cmp_gt_u32_e32 vcc, s2, v6
	v_cndmask_b32_e32 v6, v7, v8, vcc
	s_waitcnt lgkmcnt(0)
	v_sub_u32_e32 v5, v2, v5
	v_or_b32_sdwa v7, v2, v6 dst_sel:DWORD dst_unused:UNUSED_PAD src0_sel:BYTE_0 src1_sel:DWORD
	v_or_b32_sdwa v5, v5, v6 dst_sel:DWORD dst_unused:UNUSED_PAD src0_sel:BYTE_0 src1_sel:DWORD
	v_cmp_gt_u32_e32 vcc, s2, v1
	v_cndmask_b32_e32 v5, v7, v5, vcc
	v_and_b32_e32 v5, 0xffff, v5
	s_branch .LBB97_8
.LBB97_4:
                                        ; implicit-def: $vgpr5
	s_cbranch_execz .LBB97_8
; %bb.5:
	v_or_b32_e32 v5, 1, v1
	s_waitcnt vmcnt(0)
	ds_write_b32 v4, v3
	v_lshlrev_b16_e32 v6, 8, v3
	v_sub_u32_sdwa v3, v3, v2 dst_sel:BYTE_1 dst_unused:UNUSED_PAD src0_sel:DWORD src1_sel:DWORD
	s_waitcnt lgkmcnt(0)
	v_cmp_gt_u32_e32 vcc, s2, v5
	v_cndmask_b32_e32 v3, v6, v3, vcc
	v_or_b32_sdwa v3, v2, v3 dst_sel:DWORD dst_unused:UNUSED_PAD src0_sel:BYTE_0 src1_sel:DWORD
	v_cmp_ne_u32_e32 vcc, 0, v0
	v_cmp_gt_u32_e64 s[0:1], s2, v1
	v_and_b32_e32 v5, 0xffff, v3
	s_and_b64 s[2:3], vcc, s[0:1]
	s_waitcnt lgkmcnt(0)
	; wave barrier
	s_and_saveexec_b64 s[0:1], s[2:3]
	s_cbranch_execz .LBB97_7
; %bb.6:
	v_add_u32_e32 v0, -4, v4
	ds_read_b32 v0, v0
	v_and_b32_e32 v3, 0xffffff00, v5
	s_waitcnt lgkmcnt(0)
	v_sub_u32_e32 v0, v2, v0
	v_or_b32_sdwa v0, v0, v3 dst_sel:DWORD dst_unused:UNUSED_PAD src0_sel:BYTE_0 src1_sel:DWORD
	v_and_b32_e32 v5, 0xffff, v0
.LBB97_7:
	s_or_b64 exec, exec, s[0:1]
.LBB97_8:
	s_add_u32 s0, s8, s4
	s_addc_u32 s1, s9, 0
	s_waitcnt vmcnt(0)
	v_mov_b32_e32 v2, s1
	v_add_co_u32_e32 v0, vcc, s0, v1
	v_addc_co_u32_e32 v1, vcc, 0, v2, vcc
	global_store_short v[0:1], v5, off
	s_endpgm
	.section	.rodata,"a",@progbits
	.p2align	6, 0x0
	.amdhsa_kernel _Z33subtract_left_partial_tile_kernelIicc10custom_op1Lj64ELj2EEvPKT_PiPT1_
		.amdhsa_group_segment_fixed_size 512
		.amdhsa_private_segment_fixed_size 0
		.amdhsa_kernarg_size 24
		.amdhsa_user_sgpr_count 6
		.amdhsa_user_sgpr_private_segment_buffer 1
		.amdhsa_user_sgpr_dispatch_ptr 0
		.amdhsa_user_sgpr_queue_ptr 0
		.amdhsa_user_sgpr_kernarg_segment_ptr 1
		.amdhsa_user_sgpr_dispatch_id 0
		.amdhsa_user_sgpr_flat_scratch_init 0
		.amdhsa_user_sgpr_kernarg_preload_length 0
		.amdhsa_user_sgpr_kernarg_preload_offset 0
		.amdhsa_user_sgpr_private_segment_size 0
		.amdhsa_uses_dynamic_stack 0
		.amdhsa_system_sgpr_private_segment_wavefront_offset 0
		.amdhsa_system_sgpr_workgroup_id_x 1
		.amdhsa_system_sgpr_workgroup_id_y 0
		.amdhsa_system_sgpr_workgroup_id_z 0
		.amdhsa_system_sgpr_workgroup_info 0
		.amdhsa_system_vgpr_workitem_id 0
		.amdhsa_next_free_vgpr 9
		.amdhsa_next_free_sgpr 12
		.amdhsa_accum_offset 12
		.amdhsa_reserve_vcc 1
		.amdhsa_reserve_flat_scratch 0
		.amdhsa_float_round_mode_32 0
		.amdhsa_float_round_mode_16_64 0
		.amdhsa_float_denorm_mode_32 3
		.amdhsa_float_denorm_mode_16_64 3
		.amdhsa_dx10_clamp 1
		.amdhsa_ieee_mode 1
		.amdhsa_fp16_overflow 0
		.amdhsa_tg_split 0
		.amdhsa_exception_fp_ieee_invalid_op 0
		.amdhsa_exception_fp_denorm_src 0
		.amdhsa_exception_fp_ieee_div_zero 0
		.amdhsa_exception_fp_ieee_overflow 0
		.amdhsa_exception_fp_ieee_underflow 0
		.amdhsa_exception_fp_ieee_inexact 0
		.amdhsa_exception_int_div_zero 0
	.end_amdhsa_kernel
	.section	.text._Z33subtract_left_partial_tile_kernelIicc10custom_op1Lj64ELj2EEvPKT_PiPT1_,"axG",@progbits,_Z33subtract_left_partial_tile_kernelIicc10custom_op1Lj64ELj2EEvPKT_PiPT1_,comdat
.Lfunc_end97:
	.size	_Z33subtract_left_partial_tile_kernelIicc10custom_op1Lj64ELj2EEvPKT_PiPT1_, .Lfunc_end97-_Z33subtract_left_partial_tile_kernelIicc10custom_op1Lj64ELj2EEvPKT_PiPT1_
                                        ; -- End function
	.section	.AMDGPU.csdata,"",@progbits
; Kernel info:
; codeLenInByte = 412
; NumSgprs: 16
; NumVgprs: 9
; NumAgprs: 0
; TotalNumVgprs: 9
; ScratchSize: 0
; MemoryBound: 0
; FloatMode: 240
; IeeeMode: 1
; LDSByteSize: 512 bytes/workgroup (compile time only)
; SGPRBlocks: 1
; VGPRBlocks: 1
; NumSGPRsForWavesPerEU: 16
; NumVGPRsForWavesPerEU: 9
; AccumOffset: 12
; Occupancy: 8
; WaveLimiterHint : 0
; COMPUTE_PGM_RSRC2:SCRATCH_EN: 0
; COMPUTE_PGM_RSRC2:USER_SGPR: 6
; COMPUTE_PGM_RSRC2:TRAP_HANDLER: 0
; COMPUTE_PGM_RSRC2:TGID_X_EN: 1
; COMPUTE_PGM_RSRC2:TGID_Y_EN: 0
; COMPUTE_PGM_RSRC2:TGID_Z_EN: 0
; COMPUTE_PGM_RSRC2:TIDIG_COMP_CNT: 0
; COMPUTE_PGM_RSRC3_GFX90A:ACCUM_OFFSET: 2
; COMPUTE_PGM_RSRC3_GFX90A:TG_SPLIT: 0
	.section	.text._Z33subtract_left_partial_tile_kernelIhbiN6hipcub3SumELj255ELj1EEvPKT_PiPT1_,"axG",@progbits,_Z33subtract_left_partial_tile_kernelIhbiN6hipcub3SumELj255ELj1EEvPKT_PiPT1_,comdat
	.protected	_Z33subtract_left_partial_tile_kernelIhbiN6hipcub3SumELj255ELj1EEvPKT_PiPT1_ ; -- Begin function _Z33subtract_left_partial_tile_kernelIhbiN6hipcub3SumELj255ELj1EEvPKT_PiPT1_
	.globl	_Z33subtract_left_partial_tile_kernelIhbiN6hipcub3SumELj255ELj1EEvPKT_PiPT1_
	.p2align	8
	.type	_Z33subtract_left_partial_tile_kernelIhbiN6hipcub3SumELj255ELj1EEvPKT_PiPT1_,@function
_Z33subtract_left_partial_tile_kernelIhbiN6hipcub3SumELj255ELj1EEvPKT_PiPT1_: ; @_Z33subtract_left_partial_tile_kernelIhbiN6hipcub3SumELj255ELj1EEvPKT_PiPT1_
; %bb.0:
	s_load_dwordx4 s[0:3], s[4:5], 0x0
	s_load_dwordx2 s[8:9], s[4:5], 0x10
	s_mul_i32 s4, s6, 0xff
	s_mov_b32 s5, 0
	s_mov_b32 s7, s5
	s_waitcnt lgkmcnt(0)
	s_add_u32 s10, s0, s4
	s_addc_u32 s11, s1, 0
	global_load_ubyte v1, v0, s[10:11]
	s_lshl_b64 s[10:11], s[6:7], 2
	s_add_u32 s2, s2, s10
	s_addc_u32 s3, s3, s11
	s_load_dword s2, s[2:3], 0x0
	s_bitcmp0_b32 s6, 0
	v_cmp_ne_u32_e32 vcc, 0, v0
	s_cbranch_scc1 .LBB98_4
; %bb.1:
	s_add_i32 s3, s4, -1
	v_mov_b32_e32 v2, s3
	global_load_ubyte v2, v2, s[0:1]
	s_waitcnt vmcnt(1)
	ds_write_b8 v0, v1
	s_waitcnt lgkmcnt(0)
	s_barrier
	s_and_saveexec_b64 s[0:1], vcc
	s_cbranch_execz .LBB98_3
; %bb.2:
	s_waitcnt vmcnt(0)
	v_add_u32_e32 v2, -1, v0
	ds_read_u8 v2, v2
.LBB98_3:
	s_or_b64 exec, exec, s[0:1]
	v_cmp_gt_u32_e32 vcc, s2, v0
	s_waitcnt vmcnt(0) lgkmcnt(0)
	v_cndmask_b32_e32 v2, 0, v2, vcc
	v_or_b32_e32 v2, v2, v1
	s_branch .LBB98_8
.LBB98_4:
                                        ; implicit-def: $vgpr2
	s_cbranch_execz .LBB98_8
; %bb.5:
	v_cmp_ne_u32_e32 vcc, 0, v0
	s_waitcnt lgkmcnt(0)
	v_cmp_gt_u32_e64 s[0:1], s2, v0
	s_and_b64 s[2:3], vcc, s[0:1]
	s_waitcnt vmcnt(0)
	ds_write_b8 v0, v1
	s_waitcnt lgkmcnt(0)
	s_barrier
	s_and_saveexec_b64 s[0:1], s[2:3]
	s_cbranch_execz .LBB98_7
; %bb.6:
	v_add_u32_e32 v2, -1, v0
	ds_read_u8 v2, v2
	s_waitcnt lgkmcnt(0)
	v_or_b32_e32 v1, v2, v1
.LBB98_7:
	s_or_b64 exec, exec, s[0:1]
	v_mov_b32_e32 v2, v1
.LBB98_8:
	s_waitcnt vmcnt(0)
	v_mov_b32_e32 v1, 0
	s_lshl_b64 s[0:1], s[4:5], 2
	s_add_u32 s0, s8, s0
	s_waitcnt lgkmcnt(0)
	v_cmp_ne_u16_sdwa s[2:3], v2, v1 src0_sel:BYTE_0 src1_sel:DWORD
	s_addc_u32 s1, s9, s1
	v_lshlrev_b32_e32 v0, 2, v0
	v_cndmask_b32_e64 v1, 0, 1, s[2:3]
	global_store_dword v0, v1, s[0:1]
	s_endpgm
	.section	.rodata,"a",@progbits
	.p2align	6, 0x0
	.amdhsa_kernel _Z33subtract_left_partial_tile_kernelIhbiN6hipcub3SumELj255ELj1EEvPKT_PiPT1_
		.amdhsa_group_segment_fixed_size 510
		.amdhsa_private_segment_fixed_size 0
		.amdhsa_kernarg_size 24
		.amdhsa_user_sgpr_count 6
		.amdhsa_user_sgpr_private_segment_buffer 1
		.amdhsa_user_sgpr_dispatch_ptr 0
		.amdhsa_user_sgpr_queue_ptr 0
		.amdhsa_user_sgpr_kernarg_segment_ptr 1
		.amdhsa_user_sgpr_dispatch_id 0
		.amdhsa_user_sgpr_flat_scratch_init 0
		.amdhsa_user_sgpr_kernarg_preload_length 0
		.amdhsa_user_sgpr_kernarg_preload_offset 0
		.amdhsa_user_sgpr_private_segment_size 0
		.amdhsa_uses_dynamic_stack 0
		.amdhsa_system_sgpr_private_segment_wavefront_offset 0
		.amdhsa_system_sgpr_workgroup_id_x 1
		.amdhsa_system_sgpr_workgroup_id_y 0
		.amdhsa_system_sgpr_workgroup_id_z 0
		.amdhsa_system_sgpr_workgroup_info 0
		.amdhsa_system_vgpr_workitem_id 0
		.amdhsa_next_free_vgpr 3
		.amdhsa_next_free_sgpr 12
		.amdhsa_accum_offset 4
		.amdhsa_reserve_vcc 1
		.amdhsa_reserve_flat_scratch 0
		.amdhsa_float_round_mode_32 0
		.amdhsa_float_round_mode_16_64 0
		.amdhsa_float_denorm_mode_32 3
		.amdhsa_float_denorm_mode_16_64 3
		.amdhsa_dx10_clamp 1
		.amdhsa_ieee_mode 1
		.amdhsa_fp16_overflow 0
		.amdhsa_tg_split 0
		.amdhsa_exception_fp_ieee_invalid_op 0
		.amdhsa_exception_fp_denorm_src 0
		.amdhsa_exception_fp_ieee_div_zero 0
		.amdhsa_exception_fp_ieee_overflow 0
		.amdhsa_exception_fp_ieee_underflow 0
		.amdhsa_exception_fp_ieee_inexact 0
		.amdhsa_exception_int_div_zero 0
	.end_amdhsa_kernel
	.section	.text._Z33subtract_left_partial_tile_kernelIhbiN6hipcub3SumELj255ELj1EEvPKT_PiPT1_,"axG",@progbits,_Z33subtract_left_partial_tile_kernelIhbiN6hipcub3SumELj255ELj1EEvPKT_PiPT1_,comdat
.Lfunc_end98:
	.size	_Z33subtract_left_partial_tile_kernelIhbiN6hipcub3SumELj255ELj1EEvPKT_PiPT1_, .Lfunc_end98-_Z33subtract_left_partial_tile_kernelIhbiN6hipcub3SumELj255ELj1EEvPKT_PiPT1_
                                        ; -- End function
	.section	.AMDGPU.csdata,"",@progbits
; Kernel info:
; codeLenInByte = 304
; NumSgprs: 16
; NumVgprs: 3
; NumAgprs: 0
; TotalNumVgprs: 3
; ScratchSize: 0
; MemoryBound: 0
; FloatMode: 240
; IeeeMode: 1
; LDSByteSize: 510 bytes/workgroup (compile time only)
; SGPRBlocks: 1
; VGPRBlocks: 0
; NumSGPRsForWavesPerEU: 16
; NumVGPRsForWavesPerEU: 3
; AccumOffset: 4
; Occupancy: 8
; WaveLimiterHint : 0
; COMPUTE_PGM_RSRC2:SCRATCH_EN: 0
; COMPUTE_PGM_RSRC2:USER_SGPR: 6
; COMPUTE_PGM_RSRC2:TRAP_HANDLER: 0
; COMPUTE_PGM_RSRC2:TGID_X_EN: 1
; COMPUTE_PGM_RSRC2:TGID_Y_EN: 0
; COMPUTE_PGM_RSRC2:TGID_Z_EN: 0
; COMPUTE_PGM_RSRC2:TIDIG_COMP_CNT: 0
; COMPUTE_PGM_RSRC3_GFX90A:ACCUM_OFFSET: 0
; COMPUTE_PGM_RSRC3_GFX90A:TG_SPLIT: 0
	.section	.text._Z33subtract_left_partial_tile_kernelIjxx10custom_op2Lj162ELj1EEvPKT_PiPT1_,"axG",@progbits,_Z33subtract_left_partial_tile_kernelIjxx10custom_op2Lj162ELj1EEvPKT_PiPT1_,comdat
	.protected	_Z33subtract_left_partial_tile_kernelIjxx10custom_op2Lj162ELj1EEvPKT_PiPT1_ ; -- Begin function _Z33subtract_left_partial_tile_kernelIjxx10custom_op2Lj162ELj1EEvPKT_PiPT1_
	.globl	_Z33subtract_left_partial_tile_kernelIjxx10custom_op2Lj162ELj1EEvPKT_PiPT1_
	.p2align	8
	.type	_Z33subtract_left_partial_tile_kernelIjxx10custom_op2Lj162ELj1EEvPKT_PiPT1_,@function
_Z33subtract_left_partial_tile_kernelIjxx10custom_op2Lj162ELj1EEvPKT_PiPT1_: ; @_Z33subtract_left_partial_tile_kernelIjxx10custom_op2Lj162ELj1EEvPKT_PiPT1_
; %bb.0:
	s_load_dwordx4 s[0:3], s[4:5], 0x0
	s_load_dwordx2 s[8:9], s[4:5], 0x10
	s_mul_i32 s4, s6, 0xa2
	s_mov_b32 s5, 0
	s_lshl_b64 s[10:11], s[4:5], 2
	s_waitcnt lgkmcnt(0)
	s_add_u32 s10, s0, s10
	s_addc_u32 s11, s1, s11
	v_lshlrev_b32_e32 v3, 2, v0
	global_load_dword v1, v3, s[10:11]
	s_mov_b32 s7, s5
	s_lshl_b64 s[10:11], s[6:7], 2
	s_add_u32 s2, s2, s10
	s_addc_u32 s3, s3, s11
	s_load_dword s2, s[2:3], 0x0
	s_bitcmp0_b32 s6, 0
	v_cmp_ne_u32_e32 vcc, 0, v0
	s_cbranch_scc1 .LBB99_4
; %bb.1:
	s_add_i32 s6, s4, -1
	s_mov_b32 s7, s5
	s_lshl_b64 s[6:7], s[6:7], 2
	s_add_u32 s0, s0, s6
	s_addc_u32 s1, s1, s7
	s_load_dword s0, s[0:1], 0x0
	s_waitcnt vmcnt(0)
	ds_write_b32 v3, v1
	s_waitcnt lgkmcnt(0)
	s_barrier
	v_mov_b32_e32 v2, s0
	s_and_saveexec_b64 s[0:1], vcc
	s_cbranch_execz .LBB99_3
; %bb.2:
	v_add_u32_e32 v2, -4, v3
	ds_read_b32 v2, v2
.LBB99_3:
	s_or_b64 exec, exec, s[0:1]
	s_waitcnt lgkmcnt(0)
	v_lshlrev_b32_e32 v2, 1, v2
	v_sub_u32_e32 v2, v2, v1
	v_cmp_gt_u32_e32 vcc, s2, v0
	v_cndmask_b32_e32 v2, v1, v2, vcc
	s_branch .LBB99_8
.LBB99_4:
                                        ; implicit-def: $vgpr2
	s_cbranch_execz .LBB99_8
; %bb.5:
	v_cmp_ne_u32_e32 vcc, 0, v0
	s_waitcnt lgkmcnt(0)
	v_cmp_gt_u32_e64 s[0:1], s2, v0
	s_and_b64 s[2:3], vcc, s[0:1]
	s_waitcnt vmcnt(0)
	ds_write_b32 v3, v1
	s_waitcnt lgkmcnt(0)
	s_barrier
	s_and_saveexec_b64 s[0:1], s[2:3]
	s_cbranch_execz .LBB99_7
; %bb.6:
	v_add_u32_e32 v2, -4, v3
	ds_read_b32 v2, v2
	s_waitcnt lgkmcnt(0)
	v_lshlrev_b32_e32 v2, 1, v2
	v_sub_u32_e32 v1, v2, v1
.LBB99_7:
	s_or_b64 exec, exec, s[0:1]
	v_mov_b32_e32 v2, v1
.LBB99_8:
	s_lshl_b64 s[0:1], s[4:5], 3
	s_add_u32 s0, s8, s0
	v_mov_b32_e32 v3, 0
	s_addc_u32 s1, s9, s1
	v_lshlrev_b32_e32 v0, 3, v0
	global_store_dwordx2 v0, v[2:3], s[0:1]
	s_endpgm
	.section	.rodata,"a",@progbits
	.p2align	6, 0x0
	.amdhsa_kernel _Z33subtract_left_partial_tile_kernelIjxx10custom_op2Lj162ELj1EEvPKT_PiPT1_
		.amdhsa_group_segment_fixed_size 1296
		.amdhsa_private_segment_fixed_size 0
		.amdhsa_kernarg_size 24
		.amdhsa_user_sgpr_count 6
		.amdhsa_user_sgpr_private_segment_buffer 1
		.amdhsa_user_sgpr_dispatch_ptr 0
		.amdhsa_user_sgpr_queue_ptr 0
		.amdhsa_user_sgpr_kernarg_segment_ptr 1
		.amdhsa_user_sgpr_dispatch_id 0
		.amdhsa_user_sgpr_flat_scratch_init 0
		.amdhsa_user_sgpr_kernarg_preload_length 0
		.amdhsa_user_sgpr_kernarg_preload_offset 0
		.amdhsa_user_sgpr_private_segment_size 0
		.amdhsa_uses_dynamic_stack 0
		.amdhsa_system_sgpr_private_segment_wavefront_offset 0
		.amdhsa_system_sgpr_workgroup_id_x 1
		.amdhsa_system_sgpr_workgroup_id_y 0
		.amdhsa_system_sgpr_workgroup_id_z 0
		.amdhsa_system_sgpr_workgroup_info 0
		.amdhsa_system_vgpr_workitem_id 0
		.amdhsa_next_free_vgpr 4
		.amdhsa_next_free_sgpr 12
		.amdhsa_accum_offset 4
		.amdhsa_reserve_vcc 1
		.amdhsa_reserve_flat_scratch 0
		.amdhsa_float_round_mode_32 0
		.amdhsa_float_round_mode_16_64 0
		.amdhsa_float_denorm_mode_32 3
		.amdhsa_float_denorm_mode_16_64 3
		.amdhsa_dx10_clamp 1
		.amdhsa_ieee_mode 1
		.amdhsa_fp16_overflow 0
		.amdhsa_tg_split 0
		.amdhsa_exception_fp_ieee_invalid_op 0
		.amdhsa_exception_fp_denorm_src 0
		.amdhsa_exception_fp_ieee_div_zero 0
		.amdhsa_exception_fp_ieee_overflow 0
		.amdhsa_exception_fp_ieee_underflow 0
		.amdhsa_exception_fp_ieee_inexact 0
		.amdhsa_exception_int_div_zero 0
	.end_amdhsa_kernel
	.section	.text._Z33subtract_left_partial_tile_kernelIjxx10custom_op2Lj162ELj1EEvPKT_PiPT1_,"axG",@progbits,_Z33subtract_left_partial_tile_kernelIjxx10custom_op2Lj162ELj1EEvPKT_PiPT1_,comdat
.Lfunc_end99:
	.size	_Z33subtract_left_partial_tile_kernelIjxx10custom_op2Lj162ELj1EEvPKT_PiPT1_, .Lfunc_end99-_Z33subtract_left_partial_tile_kernelIjxx10custom_op2Lj162ELj1EEvPKT_PiPT1_
                                        ; -- End function
	.section	.AMDGPU.csdata,"",@progbits
; Kernel info:
; codeLenInByte = 308
; NumSgprs: 16
; NumVgprs: 4
; NumAgprs: 0
; TotalNumVgprs: 4
; ScratchSize: 0
; MemoryBound: 0
; FloatMode: 240
; IeeeMode: 1
; LDSByteSize: 1296 bytes/workgroup (compile time only)
; SGPRBlocks: 1
; VGPRBlocks: 0
; NumSGPRsForWavesPerEU: 16
; NumVGPRsForWavesPerEU: 4
; AccumOffset: 4
; Occupancy: 8
; WaveLimiterHint : 0
; COMPUTE_PGM_RSRC2:SCRATCH_EN: 0
; COMPUTE_PGM_RSRC2:USER_SGPR: 6
; COMPUTE_PGM_RSRC2:TRAP_HANDLER: 0
; COMPUTE_PGM_RSRC2:TGID_X_EN: 1
; COMPUTE_PGM_RSRC2:TGID_Y_EN: 0
; COMPUTE_PGM_RSRC2:TGID_Z_EN: 0
; COMPUTE_PGM_RSRC2:TIDIG_COMP_CNT: 0
; COMPUTE_PGM_RSRC3_GFX90A:ACCUM_OFFSET: 0
; COMPUTE_PGM_RSRC3_GFX90A:TG_SPLIT: 0
	.section	.text._Z33subtract_left_partial_tile_kernelIxcc10custom_op1Lj510ELj1EEvPKT_PiPT1_,"axG",@progbits,_Z33subtract_left_partial_tile_kernelIxcc10custom_op1Lj510ELj1EEvPKT_PiPT1_,comdat
	.protected	_Z33subtract_left_partial_tile_kernelIxcc10custom_op1Lj510ELj1EEvPKT_PiPT1_ ; -- Begin function _Z33subtract_left_partial_tile_kernelIxcc10custom_op1Lj510ELj1EEvPKT_PiPT1_
	.globl	_Z33subtract_left_partial_tile_kernelIxcc10custom_op1Lj510ELj1EEvPKT_PiPT1_
	.p2align	8
	.type	_Z33subtract_left_partial_tile_kernelIxcc10custom_op1Lj510ELj1EEvPKT_PiPT1_,@function
_Z33subtract_left_partial_tile_kernelIxcc10custom_op1Lj510ELj1EEvPKT_PiPT1_: ; @_Z33subtract_left_partial_tile_kernelIxcc10custom_op1Lj510ELj1EEvPKT_PiPT1_
; %bb.0:
	s_load_dwordx4 s[0:3], s[4:5], 0x0
	s_load_dwordx2 s[8:9], s[4:5], 0x10
	s_mul_i32 s4, s6, 0x1fe
	s_mov_b32 s5, 0
	s_lshl_b64 s[10:11], s[4:5], 3
	s_waitcnt lgkmcnt(0)
	s_add_u32 s10, s0, s10
	s_addc_u32 s11, s1, s11
	v_lshlrev_b32_e32 v1, 3, v0
	global_load_dwordx2 v[2:3], v1, s[10:11]
	s_mov_b32 s7, s5
	s_lshl_b64 s[10:11], s[6:7], 2
	s_add_u32 s2, s2, s10
	s_addc_u32 s3, s3, s11
	s_load_dword s2, s[2:3], 0x0
	s_bitcmp0_b32 s6, 0
	v_cmp_ne_u32_e32 vcc, 0, v0
	s_cbranch_scc1 .LBB100_4
; %bb.1:
	s_add_i32 s6, s4, -1
	s_mov_b32 s7, s5
	s_lshl_b64 s[6:7], s[6:7], 3
	s_add_u32 s0, s0, s6
	s_addc_u32 s1, s1, s7
	s_load_dwordx2 s[0:1], s[0:1], 0x0
	s_waitcnt vmcnt(0)
	ds_write_b64 v1, v[2:3]
	s_waitcnt lgkmcnt(0)
	s_barrier
	v_pk_mov_b32 v[4:5], s[0:1], s[0:1] op_sel:[0,1]
	s_and_saveexec_b64 s[0:1], vcc
	s_cbranch_execz .LBB100_3
; %bb.2:
	v_add_u32_e32 v4, -8, v1
	ds_read_b64 v[4:5], v4
.LBB100_3:
	s_or_b64 exec, exec, s[0:1]
	v_cmp_gt_u32_e32 vcc, s2, v0
	s_waitcnt lgkmcnt(0)
	v_cndmask_b32_e32 v4, 0, v4, vcc
	v_sub_co_u32_e32 v4, vcc, v2, v4
	s_branch .LBB100_8
.LBB100_4:
                                        ; implicit-def: $vgpr4_vgpr5
	s_cbranch_execz .LBB100_8
; %bb.5:
	v_cmp_ne_u32_e32 vcc, 0, v0
	s_waitcnt lgkmcnt(0)
	v_cmp_gt_u32_e64 s[0:1], s2, v0
	s_and_b64 s[2:3], vcc, s[0:1]
	s_waitcnt vmcnt(0)
	ds_write_b64 v1, v[2:3]
	s_waitcnt lgkmcnt(0)
	s_barrier
	s_and_saveexec_b64 s[0:1], s[2:3]
	s_cbranch_execz .LBB100_7
; %bb.6:
	v_add_u32_e32 v1, -8, v1
	ds_read_b64 v[4:5], v1
	s_waitcnt lgkmcnt(0)
	v_sub_co_u32_e32 v2, vcc, v2, v4
.LBB100_7:
	s_or_b64 exec, exec, s[0:1]
	v_pk_mov_b32 v[4:5], v[2:3], v[2:3] op_sel:[0,1]
.LBB100_8:
	s_add_u32 s0, s8, s4
	s_addc_u32 s1, s9, 0
	v_mov_b32_e32 v1, s1
	v_add_co_u32_e32 v0, vcc, s0, v0
	v_addc_co_u32_e32 v1, vcc, 0, v1, vcc
	global_store_byte v[0:1], v4, off
	s_endpgm
	.section	.rodata,"a",@progbits
	.p2align	6, 0x0
	.amdhsa_kernel _Z33subtract_left_partial_tile_kernelIxcc10custom_op1Lj510ELj1EEvPKT_PiPT1_
		.amdhsa_group_segment_fixed_size 8160
		.amdhsa_private_segment_fixed_size 0
		.amdhsa_kernarg_size 24
		.amdhsa_user_sgpr_count 6
		.amdhsa_user_sgpr_private_segment_buffer 1
		.amdhsa_user_sgpr_dispatch_ptr 0
		.amdhsa_user_sgpr_queue_ptr 0
		.amdhsa_user_sgpr_kernarg_segment_ptr 1
		.amdhsa_user_sgpr_dispatch_id 0
		.amdhsa_user_sgpr_flat_scratch_init 0
		.amdhsa_user_sgpr_kernarg_preload_length 0
		.amdhsa_user_sgpr_kernarg_preload_offset 0
		.amdhsa_user_sgpr_private_segment_size 0
		.amdhsa_uses_dynamic_stack 0
		.amdhsa_system_sgpr_private_segment_wavefront_offset 0
		.amdhsa_system_sgpr_workgroup_id_x 1
		.amdhsa_system_sgpr_workgroup_id_y 0
		.amdhsa_system_sgpr_workgroup_id_z 0
		.amdhsa_system_sgpr_workgroup_info 0
		.amdhsa_system_vgpr_workitem_id 0
		.amdhsa_next_free_vgpr 6
		.amdhsa_next_free_sgpr 12
		.amdhsa_accum_offset 8
		.amdhsa_reserve_vcc 1
		.amdhsa_reserve_flat_scratch 0
		.amdhsa_float_round_mode_32 0
		.amdhsa_float_round_mode_16_64 0
		.amdhsa_float_denorm_mode_32 3
		.amdhsa_float_denorm_mode_16_64 3
		.amdhsa_dx10_clamp 1
		.amdhsa_ieee_mode 1
		.amdhsa_fp16_overflow 0
		.amdhsa_tg_split 0
		.amdhsa_exception_fp_ieee_invalid_op 0
		.amdhsa_exception_fp_denorm_src 0
		.amdhsa_exception_fp_ieee_div_zero 0
		.amdhsa_exception_fp_ieee_overflow 0
		.amdhsa_exception_fp_ieee_underflow 0
		.amdhsa_exception_fp_ieee_inexact 0
		.amdhsa_exception_int_div_zero 0
	.end_amdhsa_kernel
	.section	.text._Z33subtract_left_partial_tile_kernelIxcc10custom_op1Lj510ELj1EEvPKT_PiPT1_,"axG",@progbits,_Z33subtract_left_partial_tile_kernelIxcc10custom_op1Lj510ELj1EEvPKT_PiPT1_,comdat
.Lfunc_end100:
	.size	_Z33subtract_left_partial_tile_kernelIxcc10custom_op1Lj510ELj1EEvPKT_PiPT1_, .Lfunc_end100-_Z33subtract_left_partial_tile_kernelIxcc10custom_op1Lj510ELj1EEvPKT_PiPT1_
                                        ; -- End function
	.section	.AMDGPU.csdata,"",@progbits
; Kernel info:
; codeLenInByte = 308
; NumSgprs: 16
; NumVgprs: 6
; NumAgprs: 0
; TotalNumVgprs: 6
; ScratchSize: 0
; MemoryBound: 0
; FloatMode: 240
; IeeeMode: 1
; LDSByteSize: 8160 bytes/workgroup (compile time only)
; SGPRBlocks: 1
; VGPRBlocks: 0
; NumSGPRsForWavesPerEU: 16
; NumVGPRsForWavesPerEU: 6
; AccumOffset: 8
; Occupancy: 8
; WaveLimiterHint : 0
; COMPUTE_PGM_RSRC2:SCRATCH_EN: 0
; COMPUTE_PGM_RSRC2:USER_SGPR: 6
; COMPUTE_PGM_RSRC2:TRAP_HANDLER: 0
; COMPUTE_PGM_RSRC2:TGID_X_EN: 1
; COMPUTE_PGM_RSRC2:TGID_Y_EN: 0
; COMPUTE_PGM_RSRC2:TGID_Z_EN: 0
; COMPUTE_PGM_RSRC2:TIDIG_COMP_CNT: 0
; COMPUTE_PGM_RSRC3_GFX90A:ACCUM_OFFSET: 1
; COMPUTE_PGM_RSRC3_GFX90A:TG_SPLIT: 0
	.section	.text._Z33subtract_left_partial_tile_kernelIfiiN6hipcub3SumELj37ELj1EEvPKT_PiPT1_,"axG",@progbits,_Z33subtract_left_partial_tile_kernelIfiiN6hipcub3SumELj37ELj1EEvPKT_PiPT1_,comdat
	.protected	_Z33subtract_left_partial_tile_kernelIfiiN6hipcub3SumELj37ELj1EEvPKT_PiPT1_ ; -- Begin function _Z33subtract_left_partial_tile_kernelIfiiN6hipcub3SumELj37ELj1EEvPKT_PiPT1_
	.globl	_Z33subtract_left_partial_tile_kernelIfiiN6hipcub3SumELj37ELj1EEvPKT_PiPT1_
	.p2align	8
	.type	_Z33subtract_left_partial_tile_kernelIfiiN6hipcub3SumELj37ELj1EEvPKT_PiPT1_,@function
_Z33subtract_left_partial_tile_kernelIfiiN6hipcub3SumELj37ELj1EEvPKT_PiPT1_: ; @_Z33subtract_left_partial_tile_kernelIfiiN6hipcub3SumELj37ELj1EEvPKT_PiPT1_
; %bb.0:
	s_load_dwordx4 s[0:3], s[4:5], 0x0
	s_load_dwordx2 s[8:9], s[4:5], 0x10
	s_mul_i32 s10, s6, 37
	s_mov_b32 s11, 0
	s_lshl_b64 s[4:5], s[10:11], 2
	s_waitcnt lgkmcnt(0)
	s_add_u32 s12, s0, s4
	s_addc_u32 s13, s1, s5
	v_lshlrev_b32_e32 v1, 2, v0
	global_load_dword v2, v1, s[12:13]
	s_mov_b32 s7, s11
	s_lshl_b64 s[12:13], s[6:7], 2
	s_add_u32 s2, s2, s12
	s_addc_u32 s3, s3, s13
	s_load_dword s2, s[2:3], 0x0
	s_bitcmp0_b32 s6, 0
	v_cmp_ne_u32_e32 vcc, 0, v0
	s_cbranch_scc1 .LBB101_4
; %bb.1:
	s_add_i32 s10, s10, -1
	s_lshl_b64 s[6:7], s[10:11], 2
	s_add_u32 s0, s0, s6
	s_addc_u32 s1, s1, s7
	s_load_dword s0, s[0:1], 0x0
	s_waitcnt vmcnt(0)
	ds_write_b32 v1, v2
	s_waitcnt lgkmcnt(0)
	; wave barrier
	s_waitcnt lgkmcnt(0)
	v_mov_b32_e32 v3, s0
	s_and_saveexec_b64 s[0:1], vcc
	s_cbranch_execz .LBB101_3
; %bb.2:
	v_add_u32_e32 v3, -4, v1
	ds_read_b32 v3, v3
.LBB101_3:
	s_or_b64 exec, exec, s[0:1]
	s_waitcnt lgkmcnt(0)
	v_add_f32_e32 v3, v2, v3
	v_cmp_gt_u32_e32 vcc, s2, v0
	v_cndmask_b32_e32 v3, v2, v3, vcc
	s_branch .LBB101_8
.LBB101_4:
                                        ; implicit-def: $vgpr3
	s_cbranch_execz .LBB101_8
; %bb.5:
	v_cmp_ne_u32_e32 vcc, 0, v0
	s_waitcnt lgkmcnt(0)
	v_cmp_gt_u32_e64 s[0:1], s2, v0
	s_and_b64 s[2:3], vcc, s[0:1]
	s_waitcnt vmcnt(0)
	ds_write_b32 v1, v2
	s_waitcnt lgkmcnt(0)
	; wave barrier
	s_waitcnt lgkmcnt(0)
	s_and_saveexec_b64 s[0:1], s[2:3]
	s_cbranch_execz .LBB101_7
; %bb.6:
	v_add_u32_e32 v0, -4, v1
	ds_read_b32 v0, v0
	s_waitcnt lgkmcnt(0)
	v_add_f32_e32 v2, v2, v0
.LBB101_7:
	s_or_b64 exec, exec, s[0:1]
	v_mov_b32_e32 v3, v2
.LBB101_8:
	v_cvt_i32_f32_e32 v0, v3
	s_add_u32 s0, s8, s4
	s_addc_u32 s1, s9, s5
	global_store_dword v1, v0, s[0:1]
	s_endpgm
	.section	.rodata,"a",@progbits
	.p2align	6, 0x0
	.amdhsa_kernel _Z33subtract_left_partial_tile_kernelIfiiN6hipcub3SumELj37ELj1EEvPKT_PiPT1_
		.amdhsa_group_segment_fixed_size 296
		.amdhsa_private_segment_fixed_size 0
		.amdhsa_kernarg_size 24
		.amdhsa_user_sgpr_count 6
		.amdhsa_user_sgpr_private_segment_buffer 1
		.amdhsa_user_sgpr_dispatch_ptr 0
		.amdhsa_user_sgpr_queue_ptr 0
		.amdhsa_user_sgpr_kernarg_segment_ptr 1
		.amdhsa_user_sgpr_dispatch_id 0
		.amdhsa_user_sgpr_flat_scratch_init 0
		.amdhsa_user_sgpr_kernarg_preload_length 0
		.amdhsa_user_sgpr_kernarg_preload_offset 0
		.amdhsa_user_sgpr_private_segment_size 0
		.amdhsa_uses_dynamic_stack 0
		.amdhsa_system_sgpr_private_segment_wavefront_offset 0
		.amdhsa_system_sgpr_workgroup_id_x 1
		.amdhsa_system_sgpr_workgroup_id_y 0
		.amdhsa_system_sgpr_workgroup_id_z 0
		.amdhsa_system_sgpr_workgroup_info 0
		.amdhsa_system_vgpr_workitem_id 0
		.amdhsa_next_free_vgpr 4
		.amdhsa_next_free_sgpr 14
		.amdhsa_accum_offset 4
		.amdhsa_reserve_vcc 1
		.amdhsa_reserve_flat_scratch 0
		.amdhsa_float_round_mode_32 0
		.amdhsa_float_round_mode_16_64 0
		.amdhsa_float_denorm_mode_32 3
		.amdhsa_float_denorm_mode_16_64 3
		.amdhsa_dx10_clamp 1
		.amdhsa_ieee_mode 1
		.amdhsa_fp16_overflow 0
		.amdhsa_tg_split 0
		.amdhsa_exception_fp_ieee_invalid_op 0
		.amdhsa_exception_fp_denorm_src 0
		.amdhsa_exception_fp_ieee_div_zero 0
		.amdhsa_exception_fp_ieee_overflow 0
		.amdhsa_exception_fp_ieee_underflow 0
		.amdhsa_exception_fp_ieee_inexact 0
		.amdhsa_exception_int_div_zero 0
	.end_amdhsa_kernel
	.section	.text._Z33subtract_left_partial_tile_kernelIfiiN6hipcub3SumELj37ELj1EEvPKT_PiPT1_,"axG",@progbits,_Z33subtract_left_partial_tile_kernelIfiiN6hipcub3SumELj37ELj1EEvPKT_PiPT1_,comdat
.Lfunc_end101:
	.size	_Z33subtract_left_partial_tile_kernelIfiiN6hipcub3SumELj37ELj1EEvPKT_PiPT1_, .Lfunc_end101-_Z33subtract_left_partial_tile_kernelIfiiN6hipcub3SumELj37ELj1EEvPKT_PiPT1_
                                        ; -- End function
	.section	.AMDGPU.csdata,"",@progbits
; Kernel info:
; codeLenInByte = 284
; NumSgprs: 18
; NumVgprs: 4
; NumAgprs: 0
; TotalNumVgprs: 4
; ScratchSize: 0
; MemoryBound: 0
; FloatMode: 240
; IeeeMode: 1
; LDSByteSize: 296 bytes/workgroup (compile time only)
; SGPRBlocks: 2
; VGPRBlocks: 0
; NumSGPRsForWavesPerEU: 18
; NumVGPRsForWavesPerEU: 4
; AccumOffset: 4
; Occupancy: 8
; WaveLimiterHint : 0
; COMPUTE_PGM_RSRC2:SCRATCH_EN: 0
; COMPUTE_PGM_RSRC2:USER_SGPR: 6
; COMPUTE_PGM_RSRC2:TRAP_HANDLER: 0
; COMPUTE_PGM_RSRC2:TGID_X_EN: 1
; COMPUTE_PGM_RSRC2:TGID_Y_EN: 0
; COMPUTE_PGM_RSRC2:TGID_Z_EN: 0
; COMPUTE_PGM_RSRC2:TIDIG_COMP_CNT: 0
; COMPUTE_PGM_RSRC3_GFX90A:ACCUM_OFFSET: 0
; COMPUTE_PGM_RSRC3_GFX90A:TG_SPLIT: 0
	.section	.text._Z33subtract_left_partial_tile_kernelIibi10custom_op1Lj256ELj1EEvPKT_PiPT1_,"axG",@progbits,_Z33subtract_left_partial_tile_kernelIibi10custom_op1Lj256ELj1EEvPKT_PiPT1_,comdat
	.protected	_Z33subtract_left_partial_tile_kernelIibi10custom_op1Lj256ELj1EEvPKT_PiPT1_ ; -- Begin function _Z33subtract_left_partial_tile_kernelIibi10custom_op1Lj256ELj1EEvPKT_PiPT1_
	.globl	_Z33subtract_left_partial_tile_kernelIibi10custom_op1Lj256ELj1EEvPKT_PiPT1_
	.p2align	8
	.type	_Z33subtract_left_partial_tile_kernelIibi10custom_op1Lj256ELj1EEvPKT_PiPT1_,@function
_Z33subtract_left_partial_tile_kernelIibi10custom_op1Lj256ELj1EEvPKT_PiPT1_: ; @_Z33subtract_left_partial_tile_kernelIibi10custom_op1Lj256ELj1EEvPKT_PiPT1_
; %bb.0:
	s_load_dwordx4 s[0:3], s[4:5], 0x0
	s_load_dwordx2 s[8:9], s[4:5], 0x10
	s_lshl_b32 s10, s6, 8
	s_mov_b32 s11, 0
	s_lshl_b64 s[4:5], s[10:11], 2
	s_waitcnt lgkmcnt(0)
	s_add_u32 s12, s0, s4
	s_addc_u32 s13, s1, s5
	v_lshlrev_b32_e32 v1, 2, v0
	global_load_dword v2, v1, s[12:13]
	s_mov_b32 s7, s11
	s_lshl_b64 s[12:13], s[6:7], 2
	s_add_u32 s2, s2, s12
	s_addc_u32 s3, s3, s13
	s_load_dword s2, s[2:3], 0x0
	s_bitcmp0_b32 s6, 0
	v_cmp_ne_u32_e32 vcc, 0, v0
	s_cbranch_scc1 .LBB102_4
; %bb.1:
	s_add_i32 s10, s10, -1
	s_lshl_b64 s[6:7], s[10:11], 2
	s_add_u32 s0, s0, s6
	s_addc_u32 s1, s1, s7
	s_load_dword s0, s[0:1], 0x0
	s_waitcnt vmcnt(0)
	ds_write_b32 v1, v2
	s_waitcnt lgkmcnt(0)
	s_barrier
	v_mov_b32_e32 v3, s0
	s_and_saveexec_b64 s[0:1], vcc
	s_cbranch_execz .LBB102_3
; %bb.2:
	v_add_u32_e32 v3, -4, v1
	ds_read_b32 v3, v3
.LBB102_3:
	s_or_b64 exec, exec, s[0:1]
	v_cmp_gt_u32_e32 vcc, s2, v0
	s_waitcnt lgkmcnt(0)
	v_cndmask_b32_e32 v3, 0, v3, vcc
	s_branch .LBB102_8
.LBB102_4:
                                        ; implicit-def: $vgpr3
	s_cbranch_execz .LBB102_8
; %bb.5:
	v_cmp_ne_u32_e32 vcc, 0, v0
	s_waitcnt lgkmcnt(0)
	v_cmp_gt_u32_e64 s[0:1], s2, v0
	s_and_b64 s[2:3], vcc, s[0:1]
	v_mov_b32_e32 v3, 0
	s_waitcnt vmcnt(0)
	ds_write_b32 v1, v2
	s_waitcnt lgkmcnt(0)
	s_barrier
	s_and_saveexec_b64 s[0:1], s[2:3]
	s_cbranch_execz .LBB102_7
; %bb.6:
	v_add_u32_e32 v0, -4, v1
	ds_read_b32 v3, v0
.LBB102_7:
	s_or_b64 exec, exec, s[0:1]
.LBB102_8:
	s_add_u32 s0, s8, s4
	s_waitcnt vmcnt(0) lgkmcnt(0)
	v_cmp_ne_u32_e32 vcc, v2, v3
	s_addc_u32 s1, s9, s5
	v_cndmask_b32_e64 v0, 0, 1, vcc
	global_store_dword v1, v0, s[0:1]
	s_endpgm
	.section	.rodata,"a",@progbits
	.p2align	6, 0x0
	.amdhsa_kernel _Z33subtract_left_partial_tile_kernelIibi10custom_op1Lj256ELj1EEvPKT_PiPT1_
		.amdhsa_group_segment_fixed_size 2048
		.amdhsa_private_segment_fixed_size 0
		.amdhsa_kernarg_size 24
		.amdhsa_user_sgpr_count 6
		.amdhsa_user_sgpr_private_segment_buffer 1
		.amdhsa_user_sgpr_dispatch_ptr 0
		.amdhsa_user_sgpr_queue_ptr 0
		.amdhsa_user_sgpr_kernarg_segment_ptr 1
		.amdhsa_user_sgpr_dispatch_id 0
		.amdhsa_user_sgpr_flat_scratch_init 0
		.amdhsa_user_sgpr_kernarg_preload_length 0
		.amdhsa_user_sgpr_kernarg_preload_offset 0
		.amdhsa_user_sgpr_private_segment_size 0
		.amdhsa_uses_dynamic_stack 0
		.amdhsa_system_sgpr_private_segment_wavefront_offset 0
		.amdhsa_system_sgpr_workgroup_id_x 1
		.amdhsa_system_sgpr_workgroup_id_y 0
		.amdhsa_system_sgpr_workgroup_id_z 0
		.amdhsa_system_sgpr_workgroup_info 0
		.amdhsa_system_vgpr_workitem_id 0
		.amdhsa_next_free_vgpr 4
		.amdhsa_next_free_sgpr 14
		.amdhsa_accum_offset 4
		.amdhsa_reserve_vcc 1
		.amdhsa_reserve_flat_scratch 0
		.amdhsa_float_round_mode_32 0
		.amdhsa_float_round_mode_16_64 0
		.amdhsa_float_denorm_mode_32 3
		.amdhsa_float_denorm_mode_16_64 3
		.amdhsa_dx10_clamp 1
		.amdhsa_ieee_mode 1
		.amdhsa_fp16_overflow 0
		.amdhsa_tg_split 0
		.amdhsa_exception_fp_ieee_invalid_op 0
		.amdhsa_exception_fp_denorm_src 0
		.amdhsa_exception_fp_ieee_div_zero 0
		.amdhsa_exception_fp_ieee_overflow 0
		.amdhsa_exception_fp_ieee_underflow 0
		.amdhsa_exception_fp_ieee_inexact 0
		.amdhsa_exception_int_div_zero 0
	.end_amdhsa_kernel
	.section	.text._Z33subtract_left_partial_tile_kernelIibi10custom_op1Lj256ELj1EEvPKT_PiPT1_,"axG",@progbits,_Z33subtract_left_partial_tile_kernelIibi10custom_op1Lj256ELj1EEvPKT_PiPT1_,comdat
.Lfunc_end102:
	.size	_Z33subtract_left_partial_tile_kernelIibi10custom_op1Lj256ELj1EEvPKT_PiPT1_, .Lfunc_end102-_Z33subtract_left_partial_tile_kernelIibi10custom_op1Lj256ELj1EEvPKT_PiPT1_
                                        ; -- End function
	.section	.AMDGPU.csdata,"",@progbits
; Kernel info:
; codeLenInByte = 284
; NumSgprs: 18
; NumVgprs: 4
; NumAgprs: 0
; TotalNumVgprs: 4
; ScratchSize: 0
; MemoryBound: 0
; FloatMode: 240
; IeeeMode: 1
; LDSByteSize: 2048 bytes/workgroup (compile time only)
; SGPRBlocks: 2
; VGPRBlocks: 0
; NumSGPRsForWavesPerEU: 18
; NumVGPRsForWavesPerEU: 4
; AccumOffset: 4
; Occupancy: 8
; WaveLimiterHint : 0
; COMPUTE_PGM_RSRC2:SCRATCH_EN: 0
; COMPUTE_PGM_RSRC2:USER_SGPR: 6
; COMPUTE_PGM_RSRC2:TRAP_HANDLER: 0
; COMPUTE_PGM_RSRC2:TGID_X_EN: 1
; COMPUTE_PGM_RSRC2:TGID_Y_EN: 0
; COMPUTE_PGM_RSRC2:TGID_Z_EN: 0
; COMPUTE_PGM_RSRC2:TIDIG_COMP_CNT: 0
; COMPUTE_PGM_RSRC3_GFX90A:ACCUM_OFFSET: 0
; COMPUTE_PGM_RSRC3_GFX90A:TG_SPLIT: 0
	.section	.text._Z33subtract_left_partial_tile_kernelI12hip_bfloat16ii10custom_op2Lj256ELj1EEvPKT_PiPT1_,"axG",@progbits,_Z33subtract_left_partial_tile_kernelI12hip_bfloat16ii10custom_op2Lj256ELj1EEvPKT_PiPT1_,comdat
	.protected	_Z33subtract_left_partial_tile_kernelI12hip_bfloat16ii10custom_op2Lj256ELj1EEvPKT_PiPT1_ ; -- Begin function _Z33subtract_left_partial_tile_kernelI12hip_bfloat16ii10custom_op2Lj256ELj1EEvPKT_PiPT1_
	.globl	_Z33subtract_left_partial_tile_kernelI12hip_bfloat16ii10custom_op2Lj256ELj1EEvPKT_PiPT1_
	.p2align	8
	.type	_Z33subtract_left_partial_tile_kernelI12hip_bfloat16ii10custom_op2Lj256ELj1EEvPKT_PiPT1_,@function
_Z33subtract_left_partial_tile_kernelI12hip_bfloat16ii10custom_op2Lj256ELj1EEvPKT_PiPT1_: ; @_Z33subtract_left_partial_tile_kernelI12hip_bfloat16ii10custom_op2Lj256ELj1EEvPKT_PiPT1_
; %bb.0:
	s_load_dwordx4 s[0:3], s[4:5], 0x0
	s_load_dwordx2 s[8:9], s[4:5], 0x10
	s_lshl_b32 s4, s6, 8
	s_mov_b32 s5, 0
	s_lshl_b64 s[10:11], s[4:5], 1
	s_waitcnt lgkmcnt(0)
	s_add_u32 s10, s0, s10
	s_addc_u32 s11, s1, s11
	v_lshlrev_b32_e32 v1, 1, v0
	global_load_ushort v2, v1, s[10:11]
	s_mov_b32 s7, s5
	s_lshl_b64 s[10:11], s[6:7], 2
	s_add_u32 s2, s2, s10
	s_addc_u32 s3, s3, s11
	s_load_dword s7, s[2:3], 0x0
	s_bitcmp0_b32 s6, 0
	v_cmp_ne_u32_e32 vcc, 0, v0
	s_cbranch_scc1 .LBB103_14
; %bb.1:
	s_add_i32 s2, s4, -1
	s_mov_b32 s3, s5
	s_lshl_b64 s[2:3], s[2:3], 1
	s_add_u32 s0, s0, s2
	s_addc_u32 s1, s1, s3
	v_mov_b32_e32 v3, 0
	global_load_ushort v4, v3, s[0:1]
	s_waitcnt vmcnt(1)
	ds_write_b16 v1, v2
	s_waitcnt lgkmcnt(0)
	s_barrier
	s_and_saveexec_b64 s[0:1], vcc
	s_cbranch_execz .LBB103_3
; %bb.2:
	v_add_u32_e32 v3, -2, v1
	s_waitcnt vmcnt(0)
	ds_read_u16 v4, v3
.LBB103_3:
	s_or_b64 exec, exec, s[0:1]
	v_lshlrev_b32_e32 v3, 16, v2
	v_cmp_gt_u32_e32 vcc, s7, v0
	s_and_saveexec_b64 s[0:1], vcc
	s_cbranch_execz .LBB103_13
; %bb.4:
	s_waitcnt vmcnt(0) lgkmcnt(0)
	v_lshlrev_b32_e32 v4, 16, v4
	v_add_f32_e32 v4, v4, v4
	s_mov_b32 s2, 0x7f800000
	v_and_b32_e32 v5, 0x7f800000, v4
	v_cmp_ne_u32_e32 vcc, s2, v5
                                        ; implicit-def: $vgpr5
	s_and_saveexec_b64 s[2:3], vcc
	s_xor_b64 s[2:3], exec, s[2:3]
; %bb.5:
	v_bfe_u32 v5, v4, 16, 1
	s_movk_i32 s6, 0x7fff
	v_add3_u32 v5, v4, v5, s6
                                        ; implicit-def: $vgpr4
; %bb.6:
	s_andn2_saveexec_b64 s[2:3], s[2:3]
; %bb.7:
	v_mov_b32_e32 v5, 0
	v_or_b32_e32 v6, 0x10000, v4
	v_cmp_eq_u32_sdwa vcc, v4, v5 src0_sel:WORD_0 src1_sel:DWORD
	v_cndmask_b32_e32 v5, v6, v4, vcc
; %bb.8:
	s_or_b64 exec, exec, s[2:3]
	v_and_b32_e32 v4, 0xffff0000, v5
	v_sub_f32_e32 v3, v4, v3
	s_mov_b32 s2, 0x7f800000
	v_and_b32_e32 v4, 0x7f800000, v3
	v_cmp_ne_u32_e32 vcc, s2, v4
                                        ; implicit-def: $vgpr4
	s_and_saveexec_b64 s[2:3], vcc
	s_xor_b64 s[2:3], exec, s[2:3]
; %bb.9:
	v_bfe_u32 v4, v3, 16, 1
	s_movk_i32 s6, 0x7fff
	v_add3_u32 v4, v3, v4, s6
                                        ; implicit-def: $vgpr3
; %bb.10:
	s_andn2_saveexec_b64 s[2:3], s[2:3]
; %bb.11:
	v_mov_b32_e32 v4, 0
	v_or_b32_e32 v5, 0x10000, v3
	v_cmp_eq_u32_sdwa vcc, v3, v4 src0_sel:WORD_0 src1_sel:DWORD
	v_cndmask_b32_e32 v4, v5, v3, vcc
; %bb.12:
	s_or_b64 exec, exec, s[2:3]
	v_and_b32_e32 v3, 0xffff0000, v4
.LBB103_13:
	s_or_b64 exec, exec, s[0:1]
	s_branch .LBB103_26
.LBB103_14:
                                        ; implicit-def: $vgpr3
	s_cbranch_execz .LBB103_26
; %bb.15:
	v_cmp_ne_u32_e32 vcc, 0, v0
	s_waitcnt lgkmcnt(0)
	v_cmp_gt_u32_e64 s[0:1], s7, v0
	s_waitcnt vmcnt(0)
	v_lshlrev_b32_e32 v3, 16, v2
	s_and_b64 s[2:3], vcc, s[0:1]
	ds_write_b16 v1, v2
	s_waitcnt lgkmcnt(0)
	s_barrier
	s_and_saveexec_b64 s[0:1], s[2:3]
	s_cbranch_execz .LBB103_25
; %bb.16:
	v_add_u32_e32 v1, -2, v1
	ds_read_u16 v1, v1
	s_mov_b32 s2, 0x7f800000
	s_waitcnt lgkmcnt(0)
	v_lshlrev_b32_e32 v1, 16, v1
	v_add_f32_e32 v1, v1, v1
	v_and_b32_e32 v2, 0x7f800000, v1
	v_cmp_ne_u32_e32 vcc, s2, v2
                                        ; implicit-def: $vgpr2
	s_and_saveexec_b64 s[2:3], vcc
	s_xor_b64 s[2:3], exec, s[2:3]
; %bb.17:
	v_bfe_u32 v2, v1, 16, 1
	s_movk_i32 s6, 0x7fff
	v_add3_u32 v2, v1, v2, s6
                                        ; implicit-def: $vgpr1
; %bb.18:
	s_andn2_saveexec_b64 s[2:3], s[2:3]
; %bb.19:
	v_mov_b32_e32 v2, 0
	v_or_b32_e32 v4, 0x10000, v1
	v_cmp_eq_u32_sdwa vcc, v1, v2 src0_sel:WORD_0 src1_sel:DWORD
	v_cndmask_b32_e32 v2, v4, v1, vcc
; %bb.20:
	s_or_b64 exec, exec, s[2:3]
	v_and_b32_e32 v1, 0xffff0000, v2
	v_sub_f32_e32 v1, v1, v3
	s_mov_b32 s2, 0x7f800000
	v_and_b32_e32 v2, 0x7f800000, v1
	v_cmp_ne_u32_e32 vcc, s2, v2
                                        ; implicit-def: $vgpr2
	s_and_saveexec_b64 s[2:3], vcc
	s_xor_b64 s[2:3], exec, s[2:3]
; %bb.21:
	v_bfe_u32 v2, v1, 16, 1
	s_movk_i32 s6, 0x7fff
	v_add3_u32 v2, v1, v2, s6
                                        ; implicit-def: $vgpr1
; %bb.22:
	s_andn2_saveexec_b64 s[2:3], s[2:3]
; %bb.23:
	v_mov_b32_e32 v2, 0
	v_or_b32_e32 v3, 0x10000, v1
	v_cmp_eq_u32_sdwa vcc, v1, v2 src0_sel:WORD_0 src1_sel:DWORD
	v_cndmask_b32_e32 v2, v3, v1, vcc
; %bb.24:
	s_or_b64 exec, exec, s[2:3]
	v_and_b32_e32 v3, 0xffff0000, v2
.LBB103_25:
	s_or_b64 exec, exec, s[0:1]
.LBB103_26:
	v_cvt_i32_f32_e32 v1, v3
	s_lshl_b64 s[0:1], s[4:5], 2
	s_add_u32 s0, s8, s0
	s_addc_u32 s1, s9, s1
	v_lshlrev_b32_e32 v0, 2, v0
	global_store_dword v0, v1, s[0:1]
	s_endpgm
	.section	.rodata,"a",@progbits
	.p2align	6, 0x0
	.amdhsa_kernel _Z33subtract_left_partial_tile_kernelI12hip_bfloat16ii10custom_op2Lj256ELj1EEvPKT_PiPT1_
		.amdhsa_group_segment_fixed_size 1024
		.amdhsa_private_segment_fixed_size 0
		.amdhsa_kernarg_size 24
		.amdhsa_user_sgpr_count 6
		.amdhsa_user_sgpr_private_segment_buffer 1
		.amdhsa_user_sgpr_dispatch_ptr 0
		.amdhsa_user_sgpr_queue_ptr 0
		.amdhsa_user_sgpr_kernarg_segment_ptr 1
		.amdhsa_user_sgpr_dispatch_id 0
		.amdhsa_user_sgpr_flat_scratch_init 0
		.amdhsa_user_sgpr_kernarg_preload_length 0
		.amdhsa_user_sgpr_kernarg_preload_offset 0
		.amdhsa_user_sgpr_private_segment_size 0
		.amdhsa_uses_dynamic_stack 0
		.amdhsa_system_sgpr_private_segment_wavefront_offset 0
		.amdhsa_system_sgpr_workgroup_id_x 1
		.amdhsa_system_sgpr_workgroup_id_y 0
		.amdhsa_system_sgpr_workgroup_id_z 0
		.amdhsa_system_sgpr_workgroup_info 0
		.amdhsa_system_vgpr_workitem_id 0
		.amdhsa_next_free_vgpr 7
		.amdhsa_next_free_sgpr 12
		.amdhsa_accum_offset 8
		.amdhsa_reserve_vcc 1
		.amdhsa_reserve_flat_scratch 0
		.amdhsa_float_round_mode_32 0
		.amdhsa_float_round_mode_16_64 0
		.amdhsa_float_denorm_mode_32 3
		.amdhsa_float_denorm_mode_16_64 3
		.amdhsa_dx10_clamp 1
		.amdhsa_ieee_mode 1
		.amdhsa_fp16_overflow 0
		.amdhsa_tg_split 0
		.amdhsa_exception_fp_ieee_invalid_op 0
		.amdhsa_exception_fp_denorm_src 0
		.amdhsa_exception_fp_ieee_div_zero 0
		.amdhsa_exception_fp_ieee_overflow 0
		.amdhsa_exception_fp_ieee_underflow 0
		.amdhsa_exception_fp_ieee_inexact 0
		.amdhsa_exception_int_div_zero 0
	.end_amdhsa_kernel
	.section	.text._Z33subtract_left_partial_tile_kernelI12hip_bfloat16ii10custom_op2Lj256ELj1EEvPKT_PiPT1_,"axG",@progbits,_Z33subtract_left_partial_tile_kernelI12hip_bfloat16ii10custom_op2Lj256ELj1EEvPKT_PiPT1_,comdat
.Lfunc_end103:
	.size	_Z33subtract_left_partial_tile_kernelI12hip_bfloat16ii10custom_op2Lj256ELj1EEvPKT_PiPT1_, .Lfunc_end103-_Z33subtract_left_partial_tile_kernelI12hip_bfloat16ii10custom_op2Lj256ELj1EEvPKT_PiPT1_
                                        ; -- End function
	.section	.AMDGPU.csdata,"",@progbits
; Kernel info:
; codeLenInByte = 680
; NumSgprs: 16
; NumVgprs: 7
; NumAgprs: 0
; TotalNumVgprs: 7
; ScratchSize: 0
; MemoryBound: 0
; FloatMode: 240
; IeeeMode: 1
; LDSByteSize: 1024 bytes/workgroup (compile time only)
; SGPRBlocks: 1
; VGPRBlocks: 0
; NumSGPRsForWavesPerEU: 16
; NumVGPRsForWavesPerEU: 7
; AccumOffset: 8
; Occupancy: 8
; WaveLimiterHint : 0
; COMPUTE_PGM_RSRC2:SCRATCH_EN: 0
; COMPUTE_PGM_RSRC2:USER_SGPR: 6
; COMPUTE_PGM_RSRC2:TRAP_HANDLER: 0
; COMPUTE_PGM_RSRC2:TGID_X_EN: 1
; COMPUTE_PGM_RSRC2:TGID_Y_EN: 0
; COMPUTE_PGM_RSRC2:TGID_Z_EN: 0
; COMPUTE_PGM_RSRC2:TIDIG_COMP_CNT: 0
; COMPUTE_PGM_RSRC3_GFX90A:ACCUM_OFFSET: 1
; COMPUTE_PGM_RSRC3_GFX90A:TG_SPLIT: 0
	.section	.text._Z33subtract_left_partial_tile_kernelI6__halfii10custom_op1Lj256ELj1EEvPKT_PiPT1_,"axG",@progbits,_Z33subtract_left_partial_tile_kernelI6__halfii10custom_op1Lj256ELj1EEvPKT_PiPT1_,comdat
	.protected	_Z33subtract_left_partial_tile_kernelI6__halfii10custom_op1Lj256ELj1EEvPKT_PiPT1_ ; -- Begin function _Z33subtract_left_partial_tile_kernelI6__halfii10custom_op1Lj256ELj1EEvPKT_PiPT1_
	.globl	_Z33subtract_left_partial_tile_kernelI6__halfii10custom_op1Lj256ELj1EEvPKT_PiPT1_
	.p2align	8
	.type	_Z33subtract_left_partial_tile_kernelI6__halfii10custom_op1Lj256ELj1EEvPKT_PiPT1_,@function
_Z33subtract_left_partial_tile_kernelI6__halfii10custom_op1Lj256ELj1EEvPKT_PiPT1_: ; @_Z33subtract_left_partial_tile_kernelI6__halfii10custom_op1Lj256ELj1EEvPKT_PiPT1_
; %bb.0:
	s_load_dwordx4 s[0:3], s[4:5], 0x0
	s_load_dwordx2 s[8:9], s[4:5], 0x10
	s_lshl_b32 s4, s6, 8
	s_mov_b32 s5, 0
	s_lshl_b64 s[10:11], s[4:5], 1
	s_waitcnt lgkmcnt(0)
	s_add_u32 s10, s0, s10
	s_addc_u32 s11, s1, s11
	v_lshlrev_b32_e32 v2, 1, v0
	global_load_ushort v1, v2, s[10:11]
	s_mov_b32 s7, s5
	s_lshl_b64 s[10:11], s[6:7], 2
	s_add_u32 s2, s2, s10
	s_addc_u32 s3, s3, s11
	s_load_dword s2, s[2:3], 0x0
	s_bitcmp0_b32 s6, 0
	v_cmp_ne_u32_e32 vcc, 0, v0
	s_cbranch_scc1 .LBB104_4
; %bb.1:
	s_add_i32 s6, s4, -1
	s_mov_b32 s7, s5
	s_lshl_b64 s[6:7], s[6:7], 1
	s_add_u32 s0, s0, s6
	s_addc_u32 s1, s1, s7
	v_mov_b32_e32 v3, 0
	global_load_ushort v3, v3, s[0:1]
	s_waitcnt vmcnt(1)
	ds_write_b16 v2, v1
	s_waitcnt lgkmcnt(0)
	s_barrier
	s_and_saveexec_b64 s[0:1], vcc
	s_cbranch_execz .LBB104_3
; %bb.2:
	s_waitcnt vmcnt(0)
	v_add_u32_e32 v3, -2, v2
	ds_read_u16 v3, v3
.LBB104_3:
	s_or_b64 exec, exec, s[0:1]
	s_waitcnt vmcnt(0) lgkmcnt(0)
	v_sub_f16_e32 v3, v1, v3
	v_cmp_gt_u32_e32 vcc, s2, v0
	v_cndmask_b32_e32 v3, v1, v3, vcc
	s_branch .LBB104_8
.LBB104_4:
                                        ; implicit-def: $vgpr3
	s_cbranch_execz .LBB104_8
; %bb.5:
	v_cmp_ne_u32_e32 vcc, 0, v0
	s_waitcnt lgkmcnt(0)
	v_cmp_gt_u32_e64 s[0:1], s2, v0
	s_and_b64 s[2:3], vcc, s[0:1]
	s_waitcnt vmcnt(0)
	ds_write_b16 v2, v1
	s_waitcnt lgkmcnt(0)
	s_barrier
	s_and_saveexec_b64 s[0:1], s[2:3]
	s_cbranch_execz .LBB104_7
; %bb.6:
	v_add_u32_e32 v2, -2, v2
	ds_read_u16 v2, v2
	s_waitcnt lgkmcnt(0)
	v_sub_f16_e32 v1, v1, v2
.LBB104_7:
	s_or_b64 exec, exec, s[0:1]
	v_mov_b32_e32 v3, v1
.LBB104_8:
	s_waitcnt vmcnt(0)
	v_cvt_f32_f16_e32 v1, v3
	s_lshl_b64 s[0:1], s[4:5], 2
	s_add_u32 s0, s8, s0
	s_addc_u32 s1, s9, s1
	v_cvt_i32_f32_e32 v1, v1
	v_lshlrev_b32_e32 v0, 2, v0
	global_store_dword v0, v1, s[0:1]
	s_endpgm
	.section	.rodata,"a",@progbits
	.p2align	6, 0x0
	.amdhsa_kernel _Z33subtract_left_partial_tile_kernelI6__halfii10custom_op1Lj256ELj1EEvPKT_PiPT1_
		.amdhsa_group_segment_fixed_size 1024
		.amdhsa_private_segment_fixed_size 0
		.amdhsa_kernarg_size 24
		.amdhsa_user_sgpr_count 6
		.amdhsa_user_sgpr_private_segment_buffer 1
		.amdhsa_user_sgpr_dispatch_ptr 0
		.amdhsa_user_sgpr_queue_ptr 0
		.amdhsa_user_sgpr_kernarg_segment_ptr 1
		.amdhsa_user_sgpr_dispatch_id 0
		.amdhsa_user_sgpr_flat_scratch_init 0
		.amdhsa_user_sgpr_kernarg_preload_length 0
		.amdhsa_user_sgpr_kernarg_preload_offset 0
		.amdhsa_user_sgpr_private_segment_size 0
		.amdhsa_uses_dynamic_stack 0
		.amdhsa_system_sgpr_private_segment_wavefront_offset 0
		.amdhsa_system_sgpr_workgroup_id_x 1
		.amdhsa_system_sgpr_workgroup_id_y 0
		.amdhsa_system_sgpr_workgroup_id_z 0
		.amdhsa_system_sgpr_workgroup_info 0
		.amdhsa_system_vgpr_workitem_id 0
		.amdhsa_next_free_vgpr 4
		.amdhsa_next_free_sgpr 12
		.amdhsa_accum_offset 4
		.amdhsa_reserve_vcc 1
		.amdhsa_reserve_flat_scratch 0
		.amdhsa_float_round_mode_32 0
		.amdhsa_float_round_mode_16_64 0
		.amdhsa_float_denorm_mode_32 3
		.amdhsa_float_denorm_mode_16_64 3
		.amdhsa_dx10_clamp 1
		.amdhsa_ieee_mode 1
		.amdhsa_fp16_overflow 0
		.amdhsa_tg_split 0
		.amdhsa_exception_fp_ieee_invalid_op 0
		.amdhsa_exception_fp_denorm_src 0
		.amdhsa_exception_fp_ieee_div_zero 0
		.amdhsa_exception_fp_ieee_overflow 0
		.amdhsa_exception_fp_ieee_underflow 0
		.amdhsa_exception_fp_ieee_inexact 0
		.amdhsa_exception_int_div_zero 0
	.end_amdhsa_kernel
	.section	.text._Z33subtract_left_partial_tile_kernelI6__halfii10custom_op1Lj256ELj1EEvPKT_PiPT1_,"axG",@progbits,_Z33subtract_left_partial_tile_kernelI6__halfii10custom_op1Lj256ELj1EEvPKT_PiPT1_,comdat
.Lfunc_end104:
	.size	_Z33subtract_left_partial_tile_kernelI6__halfii10custom_op1Lj256ELj1EEvPKT_PiPT1_, .Lfunc_end104-_Z33subtract_left_partial_tile_kernelI6__halfii10custom_op1Lj256ELj1EEvPKT_PiPT1_
                                        ; -- End function
	.section	.AMDGPU.csdata,"",@progbits
; Kernel info:
; codeLenInByte = 308
; NumSgprs: 16
; NumVgprs: 4
; NumAgprs: 0
; TotalNumVgprs: 4
; ScratchSize: 0
; MemoryBound: 0
; FloatMode: 240
; IeeeMode: 1
; LDSByteSize: 1024 bytes/workgroup (compile time only)
; SGPRBlocks: 1
; VGPRBlocks: 0
; NumSGPRsForWavesPerEU: 16
; NumVGPRsForWavesPerEU: 4
; AccumOffset: 4
; Occupancy: 8
; WaveLimiterHint : 0
; COMPUTE_PGM_RSRC2:SCRATCH_EN: 0
; COMPUTE_PGM_RSRC2:USER_SGPR: 6
; COMPUTE_PGM_RSRC2:TRAP_HANDLER: 0
; COMPUTE_PGM_RSRC2:TGID_X_EN: 1
; COMPUTE_PGM_RSRC2:TGID_Y_EN: 0
; COMPUTE_PGM_RSRC2:TGID_Z_EN: 0
; COMPUTE_PGM_RSRC2:TIDIG_COMP_CNT: 0
; COMPUTE_PGM_RSRC3_GFX90A:ACCUM_OFFSET: 0
; COMPUTE_PGM_RSRC3_GFX90A:TG_SPLIT: 0
	.section	.text._Z33subtract_left_partial_tile_kernelIfii10custom_op2Lj256ELj1EEvPKT_PiPT1_,"axG",@progbits,_Z33subtract_left_partial_tile_kernelIfii10custom_op2Lj256ELj1EEvPKT_PiPT1_,comdat
	.protected	_Z33subtract_left_partial_tile_kernelIfii10custom_op2Lj256ELj1EEvPKT_PiPT1_ ; -- Begin function _Z33subtract_left_partial_tile_kernelIfii10custom_op2Lj256ELj1EEvPKT_PiPT1_
	.globl	_Z33subtract_left_partial_tile_kernelIfii10custom_op2Lj256ELj1EEvPKT_PiPT1_
	.p2align	8
	.type	_Z33subtract_left_partial_tile_kernelIfii10custom_op2Lj256ELj1EEvPKT_PiPT1_,@function
_Z33subtract_left_partial_tile_kernelIfii10custom_op2Lj256ELj1EEvPKT_PiPT1_: ; @_Z33subtract_left_partial_tile_kernelIfii10custom_op2Lj256ELj1EEvPKT_PiPT1_
; %bb.0:
	s_load_dwordx4 s[0:3], s[4:5], 0x0
	s_load_dwordx2 s[8:9], s[4:5], 0x10
	s_lshl_b32 s10, s6, 8
	s_mov_b32 s11, 0
	s_lshl_b64 s[4:5], s[10:11], 2
	s_waitcnt lgkmcnt(0)
	s_add_u32 s12, s0, s4
	s_addc_u32 s13, s1, s5
	v_lshlrev_b32_e32 v1, 2, v0
	global_load_dword v2, v1, s[12:13]
	s_mov_b32 s7, s11
	s_lshl_b64 s[12:13], s[6:7], 2
	s_add_u32 s2, s2, s12
	s_addc_u32 s3, s3, s13
	s_load_dword s2, s[2:3], 0x0
	s_bitcmp0_b32 s6, 0
	v_cmp_ne_u32_e32 vcc, 0, v0
	s_cbranch_scc1 .LBB105_4
; %bb.1:
	s_add_i32 s10, s10, -1
	s_lshl_b64 s[6:7], s[10:11], 2
	s_add_u32 s0, s0, s6
	s_addc_u32 s1, s1, s7
	s_load_dword s0, s[0:1], 0x0
	s_waitcnt vmcnt(0)
	ds_write_b32 v1, v2
	s_waitcnt lgkmcnt(0)
	s_barrier
	v_mov_b32_e32 v3, s0
	s_and_saveexec_b64 s[0:1], vcc
	s_cbranch_execz .LBB105_3
; %bb.2:
	v_add_u32_e32 v3, -4, v1
	ds_read_b32 v3, v3
.LBB105_3:
	s_or_b64 exec, exec, s[0:1]
	s_waitcnt lgkmcnt(0)
	v_fma_f32 v3, v3, 2.0, -v2
	v_cmp_gt_u32_e32 vcc, s2, v0
	v_cndmask_b32_e32 v3, v2, v3, vcc
	s_branch .LBB105_8
.LBB105_4:
                                        ; implicit-def: $vgpr3
	s_cbranch_execz .LBB105_8
; %bb.5:
	v_cmp_ne_u32_e32 vcc, 0, v0
	s_waitcnt lgkmcnt(0)
	v_cmp_gt_u32_e64 s[0:1], s2, v0
	s_and_b64 s[2:3], vcc, s[0:1]
	s_waitcnt vmcnt(0)
	ds_write_b32 v1, v2
	s_waitcnt lgkmcnt(0)
	s_barrier
	s_and_saveexec_b64 s[0:1], s[2:3]
	s_cbranch_execz .LBB105_7
; %bb.6:
	v_add_u32_e32 v0, -4, v1
	ds_read_b32 v0, v0
	s_waitcnt lgkmcnt(0)
	v_fma_f32 v2, v0, 2.0, -v2
.LBB105_7:
	s_or_b64 exec, exec, s[0:1]
	v_mov_b32_e32 v3, v2
.LBB105_8:
	v_cvt_i32_f32_e32 v0, v3
	s_add_u32 s0, s8, s4
	s_addc_u32 s1, s9, s5
	global_store_dword v1, v0, s[0:1]
	s_endpgm
	.section	.rodata,"a",@progbits
	.p2align	6, 0x0
	.amdhsa_kernel _Z33subtract_left_partial_tile_kernelIfii10custom_op2Lj256ELj1EEvPKT_PiPT1_
		.amdhsa_group_segment_fixed_size 2048
		.amdhsa_private_segment_fixed_size 0
		.amdhsa_kernarg_size 24
		.amdhsa_user_sgpr_count 6
		.amdhsa_user_sgpr_private_segment_buffer 1
		.amdhsa_user_sgpr_dispatch_ptr 0
		.amdhsa_user_sgpr_queue_ptr 0
		.amdhsa_user_sgpr_kernarg_segment_ptr 1
		.amdhsa_user_sgpr_dispatch_id 0
		.amdhsa_user_sgpr_flat_scratch_init 0
		.amdhsa_user_sgpr_kernarg_preload_length 0
		.amdhsa_user_sgpr_kernarg_preload_offset 0
		.amdhsa_user_sgpr_private_segment_size 0
		.amdhsa_uses_dynamic_stack 0
		.amdhsa_system_sgpr_private_segment_wavefront_offset 0
		.amdhsa_system_sgpr_workgroup_id_x 1
		.amdhsa_system_sgpr_workgroup_id_y 0
		.amdhsa_system_sgpr_workgroup_id_z 0
		.amdhsa_system_sgpr_workgroup_info 0
		.amdhsa_system_vgpr_workitem_id 0
		.amdhsa_next_free_vgpr 4
		.amdhsa_next_free_sgpr 14
		.amdhsa_accum_offset 4
		.amdhsa_reserve_vcc 1
		.amdhsa_reserve_flat_scratch 0
		.amdhsa_float_round_mode_32 0
		.amdhsa_float_round_mode_16_64 0
		.amdhsa_float_denorm_mode_32 3
		.amdhsa_float_denorm_mode_16_64 3
		.amdhsa_dx10_clamp 1
		.amdhsa_ieee_mode 1
		.amdhsa_fp16_overflow 0
		.amdhsa_tg_split 0
		.amdhsa_exception_fp_ieee_invalid_op 0
		.amdhsa_exception_fp_denorm_src 0
		.amdhsa_exception_fp_ieee_div_zero 0
		.amdhsa_exception_fp_ieee_overflow 0
		.amdhsa_exception_fp_ieee_underflow 0
		.amdhsa_exception_fp_ieee_inexact 0
		.amdhsa_exception_int_div_zero 0
	.end_amdhsa_kernel
	.section	.text._Z33subtract_left_partial_tile_kernelIfii10custom_op2Lj256ELj1EEvPKT_PiPT1_,"axG",@progbits,_Z33subtract_left_partial_tile_kernelIfii10custom_op2Lj256ELj1EEvPKT_PiPT1_,comdat
.Lfunc_end105:
	.size	_Z33subtract_left_partial_tile_kernelIfii10custom_op2Lj256ELj1EEvPKT_PiPT1_, .Lfunc_end105-_Z33subtract_left_partial_tile_kernelIfii10custom_op2Lj256ELj1EEvPKT_PiPT1_
                                        ; -- End function
	.section	.AMDGPU.csdata,"",@progbits
; Kernel info:
; codeLenInByte = 292
; NumSgprs: 18
; NumVgprs: 4
; NumAgprs: 0
; TotalNumVgprs: 4
; ScratchSize: 0
; MemoryBound: 0
; FloatMode: 240
; IeeeMode: 1
; LDSByteSize: 2048 bytes/workgroup (compile time only)
; SGPRBlocks: 2
; VGPRBlocks: 0
; NumSGPRsForWavesPerEU: 18
; NumVGPRsForWavesPerEU: 4
; AccumOffset: 4
; Occupancy: 8
; WaveLimiterHint : 0
; COMPUTE_PGM_RSRC2:SCRATCH_EN: 0
; COMPUTE_PGM_RSRC2:USER_SGPR: 6
; COMPUTE_PGM_RSRC2:TRAP_HANDLER: 0
; COMPUTE_PGM_RSRC2:TGID_X_EN: 1
; COMPUTE_PGM_RSRC2:TGID_Y_EN: 0
; COMPUTE_PGM_RSRC2:TGID_Z_EN: 0
; COMPUTE_PGM_RSRC2:TIDIG_COMP_CNT: 0
; COMPUTE_PGM_RSRC3_GFX90A:ACCUM_OFFSET: 0
; COMPUTE_PGM_RSRC3_GFX90A:TG_SPLIT: 0
	.section	.text._Z33subtract_left_partial_tile_kernelIibi10custom_op1Lj128ELj1EEvPKT_PiPT1_,"axG",@progbits,_Z33subtract_left_partial_tile_kernelIibi10custom_op1Lj128ELj1EEvPKT_PiPT1_,comdat
	.protected	_Z33subtract_left_partial_tile_kernelIibi10custom_op1Lj128ELj1EEvPKT_PiPT1_ ; -- Begin function _Z33subtract_left_partial_tile_kernelIibi10custom_op1Lj128ELj1EEvPKT_PiPT1_
	.globl	_Z33subtract_left_partial_tile_kernelIibi10custom_op1Lj128ELj1EEvPKT_PiPT1_
	.p2align	8
	.type	_Z33subtract_left_partial_tile_kernelIibi10custom_op1Lj128ELj1EEvPKT_PiPT1_,@function
_Z33subtract_left_partial_tile_kernelIibi10custom_op1Lj128ELj1EEvPKT_PiPT1_: ; @_Z33subtract_left_partial_tile_kernelIibi10custom_op1Lj128ELj1EEvPKT_PiPT1_
; %bb.0:
	s_load_dwordx4 s[0:3], s[4:5], 0x0
	s_load_dwordx2 s[8:9], s[4:5], 0x10
	s_lshl_b32 s10, s6, 7
	s_mov_b32 s11, 0
	s_lshl_b64 s[4:5], s[10:11], 2
	s_waitcnt lgkmcnt(0)
	s_add_u32 s12, s0, s4
	s_addc_u32 s13, s1, s5
	v_lshlrev_b32_e32 v1, 2, v0
	global_load_dword v2, v1, s[12:13]
	s_mov_b32 s7, s11
	s_lshl_b64 s[12:13], s[6:7], 2
	s_add_u32 s2, s2, s12
	s_addc_u32 s3, s3, s13
	s_load_dword s2, s[2:3], 0x0
	s_bitcmp0_b32 s6, 0
	v_cmp_ne_u32_e32 vcc, 0, v0
	s_cbranch_scc1 .LBB106_4
; %bb.1:
	s_add_i32 s10, s10, -1
	s_lshl_b64 s[6:7], s[10:11], 2
	s_add_u32 s0, s0, s6
	s_addc_u32 s1, s1, s7
	s_load_dword s0, s[0:1], 0x0
	s_waitcnt vmcnt(0)
	ds_write_b32 v1, v2
	s_waitcnt lgkmcnt(0)
	s_barrier
	v_mov_b32_e32 v3, s0
	s_and_saveexec_b64 s[0:1], vcc
	s_cbranch_execz .LBB106_3
; %bb.2:
	v_add_u32_e32 v3, -4, v1
	ds_read_b32 v3, v3
.LBB106_3:
	s_or_b64 exec, exec, s[0:1]
	v_cmp_gt_u32_e32 vcc, s2, v0
	s_waitcnt lgkmcnt(0)
	v_cndmask_b32_e32 v3, 0, v3, vcc
	s_branch .LBB106_8
.LBB106_4:
                                        ; implicit-def: $vgpr3
	s_cbranch_execz .LBB106_8
; %bb.5:
	v_cmp_ne_u32_e32 vcc, 0, v0
	s_waitcnt lgkmcnt(0)
	v_cmp_gt_u32_e64 s[0:1], s2, v0
	s_and_b64 s[2:3], vcc, s[0:1]
	v_mov_b32_e32 v3, 0
	s_waitcnt vmcnt(0)
	ds_write_b32 v1, v2
	s_waitcnt lgkmcnt(0)
	s_barrier
	s_and_saveexec_b64 s[0:1], s[2:3]
	s_cbranch_execz .LBB106_7
; %bb.6:
	v_add_u32_e32 v0, -4, v1
	ds_read_b32 v3, v0
.LBB106_7:
	s_or_b64 exec, exec, s[0:1]
.LBB106_8:
	s_add_u32 s0, s8, s4
	s_waitcnt vmcnt(0) lgkmcnt(0)
	v_cmp_ne_u32_e32 vcc, v2, v3
	s_addc_u32 s1, s9, s5
	v_cndmask_b32_e64 v0, 0, 1, vcc
	global_store_dword v1, v0, s[0:1]
	s_endpgm
	.section	.rodata,"a",@progbits
	.p2align	6, 0x0
	.amdhsa_kernel _Z33subtract_left_partial_tile_kernelIibi10custom_op1Lj128ELj1EEvPKT_PiPT1_
		.amdhsa_group_segment_fixed_size 1024
		.amdhsa_private_segment_fixed_size 0
		.amdhsa_kernarg_size 24
		.amdhsa_user_sgpr_count 6
		.amdhsa_user_sgpr_private_segment_buffer 1
		.amdhsa_user_sgpr_dispatch_ptr 0
		.amdhsa_user_sgpr_queue_ptr 0
		.amdhsa_user_sgpr_kernarg_segment_ptr 1
		.amdhsa_user_sgpr_dispatch_id 0
		.amdhsa_user_sgpr_flat_scratch_init 0
		.amdhsa_user_sgpr_kernarg_preload_length 0
		.amdhsa_user_sgpr_kernarg_preload_offset 0
		.amdhsa_user_sgpr_private_segment_size 0
		.amdhsa_uses_dynamic_stack 0
		.amdhsa_system_sgpr_private_segment_wavefront_offset 0
		.amdhsa_system_sgpr_workgroup_id_x 1
		.amdhsa_system_sgpr_workgroup_id_y 0
		.amdhsa_system_sgpr_workgroup_id_z 0
		.amdhsa_system_sgpr_workgroup_info 0
		.amdhsa_system_vgpr_workitem_id 0
		.amdhsa_next_free_vgpr 4
		.amdhsa_next_free_sgpr 14
		.amdhsa_accum_offset 4
		.amdhsa_reserve_vcc 1
		.amdhsa_reserve_flat_scratch 0
		.amdhsa_float_round_mode_32 0
		.amdhsa_float_round_mode_16_64 0
		.amdhsa_float_denorm_mode_32 3
		.amdhsa_float_denorm_mode_16_64 3
		.amdhsa_dx10_clamp 1
		.amdhsa_ieee_mode 1
		.amdhsa_fp16_overflow 0
		.amdhsa_tg_split 0
		.amdhsa_exception_fp_ieee_invalid_op 0
		.amdhsa_exception_fp_denorm_src 0
		.amdhsa_exception_fp_ieee_div_zero 0
		.amdhsa_exception_fp_ieee_overflow 0
		.amdhsa_exception_fp_ieee_underflow 0
		.amdhsa_exception_fp_ieee_inexact 0
		.amdhsa_exception_int_div_zero 0
	.end_amdhsa_kernel
	.section	.text._Z33subtract_left_partial_tile_kernelIibi10custom_op1Lj128ELj1EEvPKT_PiPT1_,"axG",@progbits,_Z33subtract_left_partial_tile_kernelIibi10custom_op1Lj128ELj1EEvPKT_PiPT1_,comdat
.Lfunc_end106:
	.size	_Z33subtract_left_partial_tile_kernelIibi10custom_op1Lj128ELj1EEvPKT_PiPT1_, .Lfunc_end106-_Z33subtract_left_partial_tile_kernelIibi10custom_op1Lj128ELj1EEvPKT_PiPT1_
                                        ; -- End function
	.section	.AMDGPU.csdata,"",@progbits
; Kernel info:
; codeLenInByte = 284
; NumSgprs: 18
; NumVgprs: 4
; NumAgprs: 0
; TotalNumVgprs: 4
; ScratchSize: 0
; MemoryBound: 0
; FloatMode: 240
; IeeeMode: 1
; LDSByteSize: 1024 bytes/workgroup (compile time only)
; SGPRBlocks: 2
; VGPRBlocks: 0
; NumSGPRsForWavesPerEU: 18
; NumVGPRsForWavesPerEU: 4
; AccumOffset: 4
; Occupancy: 8
; WaveLimiterHint : 0
; COMPUTE_PGM_RSRC2:SCRATCH_EN: 0
; COMPUTE_PGM_RSRC2:USER_SGPR: 6
; COMPUTE_PGM_RSRC2:TRAP_HANDLER: 0
; COMPUTE_PGM_RSRC2:TGID_X_EN: 1
; COMPUTE_PGM_RSRC2:TGID_Y_EN: 0
; COMPUTE_PGM_RSRC2:TGID_Z_EN: 0
; COMPUTE_PGM_RSRC2:TIDIG_COMP_CNT: 0
; COMPUTE_PGM_RSRC3_GFX90A:ACCUM_OFFSET: 0
; COMPUTE_PGM_RSRC3_GFX90A:TG_SPLIT: 0
	.section	.text._Z33subtract_left_partial_tile_kernelIjiiN6hipcub3SumELj64ELj1EEvPKT_PiPT1_,"axG",@progbits,_Z33subtract_left_partial_tile_kernelIjiiN6hipcub3SumELj64ELj1EEvPKT_PiPT1_,comdat
	.protected	_Z33subtract_left_partial_tile_kernelIjiiN6hipcub3SumELj64ELj1EEvPKT_PiPT1_ ; -- Begin function _Z33subtract_left_partial_tile_kernelIjiiN6hipcub3SumELj64ELj1EEvPKT_PiPT1_
	.globl	_Z33subtract_left_partial_tile_kernelIjiiN6hipcub3SumELj64ELj1EEvPKT_PiPT1_
	.p2align	8
	.type	_Z33subtract_left_partial_tile_kernelIjiiN6hipcub3SumELj64ELj1EEvPKT_PiPT1_,@function
_Z33subtract_left_partial_tile_kernelIjiiN6hipcub3SumELj64ELj1EEvPKT_PiPT1_: ; @_Z33subtract_left_partial_tile_kernelIjiiN6hipcub3SumELj64ELj1EEvPKT_PiPT1_
; %bb.0:
	s_load_dwordx4 s[0:3], s[4:5], 0x0
	s_load_dwordx2 s[8:9], s[4:5], 0x10
	s_lshl_b32 s10, s6, 6
	s_mov_b32 s11, 0
	s_lshl_b64 s[4:5], s[10:11], 2
	s_waitcnt lgkmcnt(0)
	s_add_u32 s12, s0, s4
	s_addc_u32 s13, s1, s5
	v_lshlrev_b32_e32 v1, 2, v0
	global_load_dword v2, v1, s[12:13]
	s_mov_b32 s7, s11
	s_lshl_b64 s[12:13], s[6:7], 2
	s_add_u32 s2, s2, s12
	s_addc_u32 s3, s3, s13
	s_load_dword s2, s[2:3], 0x0
	s_bitcmp0_b32 s6, 0
	v_cmp_ne_u32_e32 vcc, 0, v0
	s_cbranch_scc1 .LBB107_5
; %bb.1:
	s_add_i32 s10, s10, -1
	s_lshl_b64 s[6:7], s[10:11], 2
	s_add_u32 s0, s0, s6
	s_addc_u32 s1, s1, s7
	s_load_dword s0, s[0:1], 0x0
	s_waitcnt vmcnt(0)
	ds_write_b32 v1, v2
	s_waitcnt lgkmcnt(0)
	; wave barrier
	s_waitcnt lgkmcnt(0)
	v_mov_b32_e32 v3, s0
	s_and_saveexec_b64 s[0:1], vcc
	s_cbranch_execz .LBB107_3
; %bb.2:
	v_add_u32_e32 v3, -4, v1
	ds_read_b32 v3, v3
.LBB107_3:
	s_or_b64 exec, exec, s[0:1]
	v_cmp_gt_u32_e32 vcc, s2, v0
	s_waitcnt lgkmcnt(0)
	v_cndmask_b32_e32 v3, 0, v3, vcc
	v_add_u32_e32 v3, v3, v2
.LBB107_4:
	s_add_u32 s0, s8, s4
	s_addc_u32 s1, s9, s5
	global_store_dword v1, v3, s[0:1]
	s_endpgm
.LBB107_5:
                                        ; implicit-def: $vgpr3
	s_cbranch_execz .LBB107_4
; %bb.6:
	v_cmp_ne_u32_e32 vcc, 0, v0
	s_waitcnt lgkmcnt(0)
	v_cmp_gt_u32_e64 s[0:1], s2, v0
	s_and_b64 s[2:3], vcc, s[0:1]
	s_waitcnt vmcnt(0)
	ds_write_b32 v1, v2
	s_waitcnt lgkmcnt(0)
	; wave barrier
	s_waitcnt lgkmcnt(0)
	s_and_saveexec_b64 s[0:1], s[2:3]
	s_cbranch_execz .LBB107_8
; %bb.7:
	v_add_u32_e32 v0, -4, v1
	ds_read_b32 v0, v0
	s_waitcnt lgkmcnt(0)
	v_add_u32_e32 v2, v0, v2
.LBB107_8:
	s_or_b64 exec, exec, s[0:1]
	v_mov_b32_e32 v3, v2
	s_add_u32 s0, s8, s4
	s_addc_u32 s1, s9, s5
	global_store_dword v1, v3, s[0:1]
	s_endpgm
	.section	.rodata,"a",@progbits
	.p2align	6, 0x0
	.amdhsa_kernel _Z33subtract_left_partial_tile_kernelIjiiN6hipcub3SumELj64ELj1EEvPKT_PiPT1_
		.amdhsa_group_segment_fixed_size 512
		.amdhsa_private_segment_fixed_size 0
		.amdhsa_kernarg_size 24
		.amdhsa_user_sgpr_count 6
		.amdhsa_user_sgpr_private_segment_buffer 1
		.amdhsa_user_sgpr_dispatch_ptr 0
		.amdhsa_user_sgpr_queue_ptr 0
		.amdhsa_user_sgpr_kernarg_segment_ptr 1
		.amdhsa_user_sgpr_dispatch_id 0
		.amdhsa_user_sgpr_flat_scratch_init 0
		.amdhsa_user_sgpr_kernarg_preload_length 0
		.amdhsa_user_sgpr_kernarg_preload_offset 0
		.amdhsa_user_sgpr_private_segment_size 0
		.amdhsa_uses_dynamic_stack 0
		.amdhsa_system_sgpr_private_segment_wavefront_offset 0
		.amdhsa_system_sgpr_workgroup_id_x 1
		.amdhsa_system_sgpr_workgroup_id_y 0
		.amdhsa_system_sgpr_workgroup_id_z 0
		.amdhsa_system_sgpr_workgroup_info 0
		.amdhsa_system_vgpr_workitem_id 0
		.amdhsa_next_free_vgpr 4
		.amdhsa_next_free_sgpr 14
		.amdhsa_accum_offset 4
		.amdhsa_reserve_vcc 1
		.amdhsa_reserve_flat_scratch 0
		.amdhsa_float_round_mode_32 0
		.amdhsa_float_round_mode_16_64 0
		.amdhsa_float_denorm_mode_32 3
		.amdhsa_float_denorm_mode_16_64 3
		.amdhsa_dx10_clamp 1
		.amdhsa_ieee_mode 1
		.amdhsa_fp16_overflow 0
		.amdhsa_tg_split 0
		.amdhsa_exception_fp_ieee_invalid_op 0
		.amdhsa_exception_fp_denorm_src 0
		.amdhsa_exception_fp_ieee_div_zero 0
		.amdhsa_exception_fp_ieee_overflow 0
		.amdhsa_exception_fp_ieee_underflow 0
		.amdhsa_exception_fp_ieee_inexact 0
		.amdhsa_exception_int_div_zero 0
	.end_amdhsa_kernel
	.section	.text._Z33subtract_left_partial_tile_kernelIjiiN6hipcub3SumELj64ELj1EEvPKT_PiPT1_,"axG",@progbits,_Z33subtract_left_partial_tile_kernelIjiiN6hipcub3SumELj64ELj1EEvPKT_PiPT1_,comdat
.Lfunc_end107:
	.size	_Z33subtract_left_partial_tile_kernelIjiiN6hipcub3SumELj64ELj1EEvPKT_PiPT1_, .Lfunc_end107-_Z33subtract_left_partial_tile_kernelIjiiN6hipcub3SumELj64ELj1EEvPKT_PiPT1_
                                        ; -- End function
	.section	.AMDGPU.csdata,"",@progbits
; Kernel info:
; codeLenInByte = 296
; NumSgprs: 18
; NumVgprs: 4
; NumAgprs: 0
; TotalNumVgprs: 4
; ScratchSize: 0
; MemoryBound: 0
; FloatMode: 240
; IeeeMode: 1
; LDSByteSize: 512 bytes/workgroup (compile time only)
; SGPRBlocks: 2
; VGPRBlocks: 0
; NumSGPRsForWavesPerEU: 18
; NumVGPRsForWavesPerEU: 4
; AccumOffset: 4
; Occupancy: 8
; WaveLimiterHint : 0
; COMPUTE_PGM_RSRC2:SCRATCH_EN: 0
; COMPUTE_PGM_RSRC2:USER_SGPR: 6
; COMPUTE_PGM_RSRC2:TRAP_HANDLER: 0
; COMPUTE_PGM_RSRC2:TGID_X_EN: 1
; COMPUTE_PGM_RSRC2:TGID_Y_EN: 0
; COMPUTE_PGM_RSRC2:TGID_Z_EN: 0
; COMPUTE_PGM_RSRC2:TIDIG_COMP_CNT: 0
; COMPUTE_PGM_RSRC3_GFX90A:ACCUM_OFFSET: 0
; COMPUTE_PGM_RSRC3_GFX90A:TG_SPLIT: 0
	.section	.text._Z21subtract_right_kernelIsbi10custom_op2Lj234ELj9EEvPKT_PT1_,"axG",@progbits,_Z21subtract_right_kernelIsbi10custom_op2Lj234ELj9EEvPKT_PT1_,comdat
	.protected	_Z21subtract_right_kernelIsbi10custom_op2Lj234ELj9EEvPKT_PT1_ ; -- Begin function _Z21subtract_right_kernelIsbi10custom_op2Lj234ELj9EEvPKT_PT1_
	.globl	_Z21subtract_right_kernelIsbi10custom_op2Lj234ELj9EEvPKT_PT1_
	.p2align	8
	.type	_Z21subtract_right_kernelIsbi10custom_op2Lj234ELj9EEvPKT_PT1_,@function
_Z21subtract_right_kernelIsbi10custom_op2Lj234ELj9EEvPKT_PT1_: ; @_Z21subtract_right_kernelIsbi10custom_op2Lj234ELj9EEvPKT_PT1_
; %bb.0:
	s_load_dwordx4 s[0:3], s[4:5], 0x0
	s_mul_i32 s4, s6, 0x83a
	s_mov_b32 s5, 0
	s_lshl_b64 s[8:9], s[4:5], 1
	v_mul_u32_u24_e32 v1, 9, v0
	s_waitcnt lgkmcnt(0)
	s_add_u32 s8, s0, s8
	s_addc_u32 s9, s1, s9
	v_lshlrev_b32_e32 v7, 1, v1
	global_load_dwordx4 v[2:5], v7, s[8:9]
	global_load_ushort v6, v7, s[8:9] offset:16
	s_bitcmp1_b32 s6, 0
	s_cselect_b64 s[6:7], -1, 0
	v_lshlrev_b32_e32 v11, 1, v0
	s_and_b64 vcc, exec, s[6:7]
	s_waitcnt vmcnt(1)
	v_lshlrev_b16_e32 v10, 1, v3
	v_lshlrev_b16_e32 v9, 1, v4
	;; [unrolled: 1-line block ×3, first 2 shown]
	s_waitcnt vmcnt(0)
	v_lshlrev_b16_e32 v7, 1, v6
	s_cbranch_vccz .LBB108_4
; %bb.1:
	v_mov_b32_e32 v12, 1
	v_lshlrev_b16_sdwa v13, v12, v2 dst_sel:DWORD dst_unused:UNUSED_PAD src0_sel:DWORD src1_sel:WORD_1
	v_cmp_ne_u16_sdwa s[6:7], v10, v2 src0_sel:DWORD src1_sel:WORD_1
	v_cmp_ne_u16_e32 vcc, v13, v2
	v_cndmask_b32_e64 v14, 0, 1, s[6:7]
	v_lshlrev_b16_sdwa v15, v12, v3 dst_sel:DWORD dst_unused:UNUSED_PAD src0_sel:DWORD src1_sel:WORD_1
	v_cmp_ne_u16_sdwa s[6:7], v9, v3 src0_sel:DWORD src1_sel:WORD_1
	v_cndmask_b32_e64 v13, 0, 1, vcc
	v_cmp_ne_u16_e32 vcc, v15, v3
	v_cndmask_b32_e64 v16, 0, 1, s[6:7]
	v_lshlrev_b16_sdwa v17, v12, v4 dst_sel:DWORD dst_unused:UNUSED_PAD src0_sel:DWORD src1_sel:WORD_1
	v_cmp_ne_u16_sdwa s[6:7], v8, v4 src0_sel:DWORD src1_sel:WORD_1
	v_lshlrev_b16_e32 v14, 8, v14
	v_cndmask_b32_e64 v15, 0, 1, vcc
	v_cmp_ne_u16_e32 vcc, v17, v4
	v_cndmask_b32_e64 v18, 0, 1, s[6:7]
	v_lshlrev_b16_sdwa v12, v12, v5 dst_sel:DWORD dst_unused:UNUSED_PAD src0_sel:DWORD src1_sel:WORD_1
	v_cmp_ne_u16_sdwa s[6:7], v7, v5 src0_sel:DWORD src1_sel:WORD_1
	v_or_b32_e32 v13, v13, v14
	v_lshlrev_b16_e32 v14, 8, v16
	v_cndmask_b32_e64 v17, 0, 1, vcc
	v_cmp_ne_u16_e32 vcc, v12, v5
	v_cndmask_b32_e64 v20, 0, 1, s[6:7]
	v_or_b32_sdwa v14, v15, v14 dst_sel:WORD_1 dst_unused:UNUSED_PAD src0_sel:DWORD src1_sel:DWORD
	v_cndmask_b32_e64 v19, 0, 1, vcc
	v_or_b32_sdwa v13, v13, v14 dst_sel:DWORD dst_unused:UNUSED_PAD src0_sel:WORD_0 src1_sel:DWORD
	v_lshlrev_b16_e32 v14, 8, v18
	v_lshlrev_b16_e32 v15, 8, v20
	v_cmp_ne_u16_e32 vcc, 0, v6
	v_or_b32_e32 v14, v17, v14
	v_or_b32_sdwa v15, v19, v15 dst_sel:WORD_1 dst_unused:UNUSED_PAD src0_sel:DWORD src1_sel:DWORD
	s_movk_i32 s6, 0xe9
	v_cndmask_b32_e64 v12, 0, 1, vcc
	v_or_b32_sdwa v14, v14, v15 dst_sel:DWORD dst_unused:UNUSED_PAD src0_sel:WORD_0 src1_sel:DWORD
	v_cmp_ne_u32_e32 vcc, s6, v0
	ds_write_b16 v11, v2 offset:468
	s_waitcnt lgkmcnt(0)
	s_barrier
	s_and_saveexec_b64 s[6:7], vcc
	s_cbranch_execz .LBB108_3
; %bb.2:
	ds_read_u16 v12, v11 offset:470
	s_waitcnt lgkmcnt(0)
	v_lshlrev_b16_e32 v12, 1, v12
	v_cmp_ne_u16_e32 vcc, v12, v6
	v_cndmask_b32_e64 v12, 0, 1, vcc
.LBB108_3:
	s_or_b64 exec, exec, s[6:7]
	s_cbranch_execz .LBB108_5
	s_branch .LBB108_8
.LBB108_4:
                                        ; implicit-def: $vgpr12
                                        ; implicit-def: $vgpr14
                                        ; implicit-def: $vgpr13
.LBB108_5:
	s_add_i32 s6, s4, 0x83a
	s_mov_b32 s7, 0
	s_lshl_b64 s[6:7], s[6:7], 1
	s_add_u32 s0, s0, s6
	s_addc_u32 s1, s1, s7
	v_mov_b32_e32 v12, 0
	global_load_ushort v12, v12, s[0:1]
	s_movk_i32 s0, 0xe9
	v_cmp_ne_u32_e32 vcc, s0, v0
	ds_write_b16 v11, v2 offset:468
	s_waitcnt lgkmcnt(0)
	s_barrier
	s_and_saveexec_b64 s[0:1], vcc
	s_cbranch_execz .LBB108_7
; %bb.6:
	s_waitcnt vmcnt(0)
	ds_read_u16 v12, v11 offset:470
.LBB108_7:
	s_or_b64 exec, exec, s[0:1]
	v_mov_b32_e32 v0, 1
	v_lshlrev_b16_sdwa v11, v0, v2 dst_sel:DWORD dst_unused:UNUSED_PAD src0_sel:DWORD src1_sel:WORD_1
	v_cmp_ne_u16_sdwa s[0:1], v10, v2 src0_sel:DWORD src1_sel:WORD_1
	v_cmp_ne_u16_e32 vcc, v11, v2
	v_cndmask_b32_e64 v2, 0, 1, s[0:1]
	v_lshlrev_b16_sdwa v10, v0, v3 dst_sel:DWORD dst_unused:UNUSED_PAD src0_sel:DWORD src1_sel:WORD_1
	v_cmp_ne_u16_sdwa s[0:1], v9, v3 src0_sel:DWORD src1_sel:WORD_1
	v_cndmask_b32_e64 v11, 0, 1, vcc
	v_cmp_ne_u16_e32 vcc, v10, v3
	v_cndmask_b32_e64 v3, 0, 1, s[0:1]
	v_lshlrev_b16_sdwa v9, v0, v4 dst_sel:DWORD dst_unused:UNUSED_PAD src0_sel:DWORD src1_sel:WORD_1
	v_cmp_ne_u16_sdwa s[0:1], v8, v4 src0_sel:DWORD src1_sel:WORD_1
	v_cndmask_b32_e64 v10, 0, 1, vcc
	v_cmp_ne_u16_e32 vcc, v9, v4
	v_cndmask_b32_e64 v4, 0, 1, s[0:1]
	v_lshlrev_b16_sdwa v0, v0, v5 dst_sel:DWORD dst_unused:UNUSED_PAD src0_sel:DWORD src1_sel:WORD_1
	v_cmp_ne_u16_sdwa s[0:1], v7, v5 src0_sel:DWORD src1_sel:WORD_1
	v_lshlrev_b16_e32 v2, 8, v2
	v_lshlrev_b16_e32 v3, 8, v3
	v_cndmask_b32_e64 v9, 0, 1, vcc
	v_cmp_ne_u16_e32 vcc, v0, v5
	v_cndmask_b32_e64 v5, 0, 1, s[0:1]
	v_or_b32_e32 v2, v11, v2
	v_or_b32_sdwa v3, v10, v3 dst_sel:WORD_1 dst_unused:UNUSED_PAD src0_sel:DWORD src1_sel:DWORD
	v_cndmask_b32_e64 v0, 0, 1, vcc
	s_waitcnt vmcnt(0) lgkmcnt(0)
	v_lshlrev_b16_e32 v7, 1, v12
	v_or_b32_sdwa v13, v2, v3 dst_sel:DWORD dst_unused:UNUSED_PAD src0_sel:WORD_0 src1_sel:DWORD
	v_lshlrev_b16_e32 v2, 8, v4
	v_lshlrev_b16_e32 v3, 8, v5
	v_cmp_ne_u16_e32 vcc, v7, v6
	v_or_b32_e32 v2, v9, v2
	v_or_b32_sdwa v0, v0, v3 dst_sel:WORD_1 dst_unused:UNUSED_PAD src0_sel:DWORD src1_sel:DWORD
	v_cndmask_b32_e64 v12, 0, 1, vcc
	v_or_b32_sdwa v14, v2, v0 dst_sel:DWORD dst_unused:UNUSED_PAD src0_sel:WORD_0 src1_sel:DWORD
.LBB108_8:
	s_lshl_b64 s[0:1], s[4:5], 2
	s_add_u32 s0, s2, s0
	v_lshrrev_b32_e32 v3, 24, v13
	s_addc_u32 s1, s3, s1
	v_lshlrev_b32_e32 v6, 2, v1
	v_and_b32_e32 v0, 0xff, v13
	v_lshrrev_b16_e32 v1, 8, v13
	v_bfe_u32 v2, v13, 16, 8
	v_lshrrev_b32_e32 v5, 24, v14
	global_store_dwordx4 v6, v[0:3], s[0:1]
	v_bfe_u32 v4, v14, 16, 8
	v_and_b32_e32 v2, 0xff, v14
	v_lshrrev_b16_e32 v3, 8, v14
	v_and_b32_e32 v0, 0xff, v12
	global_store_dwordx4 v6, v[2:5], s[0:1] offset:16
	global_store_dword v6, v0, s[0:1] offset:32
	s_endpgm
	.section	.rodata,"a",@progbits
	.p2align	6, 0x0
	.amdhsa_kernel _Z21subtract_right_kernelIsbi10custom_op2Lj234ELj9EEvPKT_PT1_
		.amdhsa_group_segment_fixed_size 936
		.amdhsa_private_segment_fixed_size 0
		.amdhsa_kernarg_size 16
		.amdhsa_user_sgpr_count 6
		.amdhsa_user_sgpr_private_segment_buffer 1
		.amdhsa_user_sgpr_dispatch_ptr 0
		.amdhsa_user_sgpr_queue_ptr 0
		.amdhsa_user_sgpr_kernarg_segment_ptr 1
		.amdhsa_user_sgpr_dispatch_id 0
		.amdhsa_user_sgpr_flat_scratch_init 0
		.amdhsa_user_sgpr_kernarg_preload_length 0
		.amdhsa_user_sgpr_kernarg_preload_offset 0
		.amdhsa_user_sgpr_private_segment_size 0
		.amdhsa_uses_dynamic_stack 0
		.amdhsa_system_sgpr_private_segment_wavefront_offset 0
		.amdhsa_system_sgpr_workgroup_id_x 1
		.amdhsa_system_sgpr_workgroup_id_y 0
		.amdhsa_system_sgpr_workgroup_id_z 0
		.amdhsa_system_sgpr_workgroup_info 0
		.amdhsa_system_vgpr_workitem_id 0
		.amdhsa_next_free_vgpr 21
		.amdhsa_next_free_sgpr 10
		.amdhsa_accum_offset 24
		.amdhsa_reserve_vcc 1
		.amdhsa_reserve_flat_scratch 0
		.amdhsa_float_round_mode_32 0
		.amdhsa_float_round_mode_16_64 0
		.amdhsa_float_denorm_mode_32 3
		.amdhsa_float_denorm_mode_16_64 3
		.amdhsa_dx10_clamp 1
		.amdhsa_ieee_mode 1
		.amdhsa_fp16_overflow 0
		.amdhsa_tg_split 0
		.amdhsa_exception_fp_ieee_invalid_op 0
		.amdhsa_exception_fp_denorm_src 0
		.amdhsa_exception_fp_ieee_div_zero 0
		.amdhsa_exception_fp_ieee_overflow 0
		.amdhsa_exception_fp_ieee_underflow 0
		.amdhsa_exception_fp_ieee_inexact 0
		.amdhsa_exception_int_div_zero 0
	.end_amdhsa_kernel
	.section	.text._Z21subtract_right_kernelIsbi10custom_op2Lj234ELj9EEvPKT_PT1_,"axG",@progbits,_Z21subtract_right_kernelIsbi10custom_op2Lj234ELj9EEvPKT_PT1_,comdat
.Lfunc_end108:
	.size	_Z21subtract_right_kernelIsbi10custom_op2Lj234ELj9EEvPKT_PT1_, .Lfunc_end108-_Z21subtract_right_kernelIsbi10custom_op2Lj234ELj9EEvPKT_PT1_
                                        ; -- End function
	.section	.AMDGPU.csdata,"",@progbits
; Kernel info:
; codeLenInByte = 800
; NumSgprs: 14
; NumVgprs: 21
; NumAgprs: 0
; TotalNumVgprs: 21
; ScratchSize: 0
; MemoryBound: 0
; FloatMode: 240
; IeeeMode: 1
; LDSByteSize: 936 bytes/workgroup (compile time only)
; SGPRBlocks: 1
; VGPRBlocks: 2
; NumSGPRsForWavesPerEU: 14
; NumVGPRsForWavesPerEU: 21
; AccumOffset: 24
; Occupancy: 8
; WaveLimiterHint : 0
; COMPUTE_PGM_RSRC2:SCRATCH_EN: 0
; COMPUTE_PGM_RSRC2:USER_SGPR: 6
; COMPUTE_PGM_RSRC2:TRAP_HANDLER: 0
; COMPUTE_PGM_RSRC2:TGID_X_EN: 1
; COMPUTE_PGM_RSRC2:TGID_Y_EN: 0
; COMPUTE_PGM_RSRC2:TGID_Z_EN: 0
; COMPUTE_PGM_RSRC2:TIDIG_COMP_CNT: 0
; COMPUTE_PGM_RSRC3_GFX90A:ACCUM_OFFSET: 5
; COMPUTE_PGM_RSRC3_GFX90A:TG_SPLIT: 0
	.section	.text._Z21subtract_right_kernelItii10custom_op1Lj100ELj3EEvPKT_PT1_,"axG",@progbits,_Z21subtract_right_kernelItii10custom_op1Lj100ELj3EEvPKT_PT1_,comdat
	.protected	_Z21subtract_right_kernelItii10custom_op1Lj100ELj3EEvPKT_PT1_ ; -- Begin function _Z21subtract_right_kernelItii10custom_op1Lj100ELj3EEvPKT_PT1_
	.globl	_Z21subtract_right_kernelItii10custom_op1Lj100ELj3EEvPKT_PT1_
	.p2align	8
	.type	_Z21subtract_right_kernelItii10custom_op1Lj100ELj3EEvPKT_PT1_,@function
_Z21subtract_right_kernelItii10custom_op1Lj100ELj3EEvPKT_PT1_: ; @_Z21subtract_right_kernelItii10custom_op1Lj100ELj3EEvPKT_PT1_
; %bb.0:
	s_load_dwordx4 s[0:3], s[4:5], 0x0
	s_mul_i32 s4, s6, 0x12c
	s_mov_b32 s5, 0
	s_lshl_b64 s[8:9], s[4:5], 1
	v_mul_u32_u24_e32 v1, 3, v0
	s_waitcnt lgkmcnt(0)
	s_add_u32 s8, s0, s8
	s_addc_u32 s9, s1, s9
	v_lshlrev_b32_e32 v2, 1, v1
	global_load_dword v7, v2, s[8:9]
	global_load_ushort v5, v2, s[8:9] offset:4
	s_bitcmp1_b32 s6, 0
	s_cselect_b64 s[6:7], -1, 0
	v_lshlrev_b32_e32 v6, 1, v0
	s_and_b64 vcc, exec, s[6:7]
	s_waitcnt vmcnt(1)
	v_sub_u16_sdwa v2, v7, v7 dst_sel:DWORD dst_unused:UNUSED_PAD src0_sel:DWORD src1_sel:WORD_1
	s_waitcnt vmcnt(0)
	v_sub_u16_sdwa v3, v7, v5 dst_sel:DWORD dst_unused:UNUSED_PAD src0_sel:WORD_1 src1_sel:DWORD
	s_cbranch_vccz .LBB109_4
; %bb.1:
	s_movk_i32 s6, 0x63
	v_cmp_ne_u32_e32 vcc, s6, v0
	v_mov_b32_e32 v4, v5
	ds_write_b16 v6, v7 offset:200
	s_waitcnt lgkmcnt(0)
	s_barrier
	s_and_saveexec_b64 s[6:7], vcc
	s_cbranch_execz .LBB109_3
; %bb.2:
	ds_read_u16 v4, v6 offset:202
	s_waitcnt lgkmcnt(0)
	v_sub_u16_e32 v4, v5, v4
.LBB109_3:
	s_or_b64 exec, exec, s[6:7]
	s_cbranch_execz .LBB109_5
	s_branch .LBB109_8
.LBB109_4:
.LBB109_5:
	s_add_i32 s6, s4, 0x12c
	s_mov_b32 s7, 0
	s_lshl_b64 s[6:7], s[6:7], 1
	s_add_u32 s0, s0, s6
	s_addc_u32 s1, s1, s7
	v_mov_b32_e32 v4, 0
	global_load_ushort v4, v4, s[0:1]
	s_movk_i32 s0, 0x63
	v_cmp_ne_u32_e32 vcc, s0, v0
	ds_write_b16 v6, v7 offset:200
	s_waitcnt lgkmcnt(0)
	s_barrier
	s_and_saveexec_b64 s[0:1], vcc
	s_cbranch_execz .LBB109_7
; %bb.6:
	s_waitcnt vmcnt(0)
	ds_read_u16 v4, v6 offset:202
.LBB109_7:
	s_or_b64 exec, exec, s[0:1]
	s_waitcnt vmcnt(0) lgkmcnt(0)
	v_sub_u16_e32 v4, v5, v4
.LBB109_8:
	s_lshl_b64 s[0:1], s[4:5], 2
	s_add_u32 s0, s2, s0
	s_addc_u32 s1, s3, s1
	v_lshlrev_b32_e32 v0, 2, v1
	global_store_dwordx3 v0, v[2:4], s[0:1]
	s_endpgm
	.section	.rodata,"a",@progbits
	.p2align	6, 0x0
	.amdhsa_kernel _Z21subtract_right_kernelItii10custom_op1Lj100ELj3EEvPKT_PT1_
		.amdhsa_group_segment_fixed_size 400
		.amdhsa_private_segment_fixed_size 0
		.amdhsa_kernarg_size 16
		.amdhsa_user_sgpr_count 6
		.amdhsa_user_sgpr_private_segment_buffer 1
		.amdhsa_user_sgpr_dispatch_ptr 0
		.amdhsa_user_sgpr_queue_ptr 0
		.amdhsa_user_sgpr_kernarg_segment_ptr 1
		.amdhsa_user_sgpr_dispatch_id 0
		.amdhsa_user_sgpr_flat_scratch_init 0
		.amdhsa_user_sgpr_kernarg_preload_length 0
		.amdhsa_user_sgpr_kernarg_preload_offset 0
		.amdhsa_user_sgpr_private_segment_size 0
		.amdhsa_uses_dynamic_stack 0
		.amdhsa_system_sgpr_private_segment_wavefront_offset 0
		.amdhsa_system_sgpr_workgroup_id_x 1
		.amdhsa_system_sgpr_workgroup_id_y 0
		.amdhsa_system_sgpr_workgroup_id_z 0
		.amdhsa_system_sgpr_workgroup_info 0
		.amdhsa_system_vgpr_workitem_id 0
		.amdhsa_next_free_vgpr 8
		.amdhsa_next_free_sgpr 10
		.amdhsa_accum_offset 8
		.amdhsa_reserve_vcc 1
		.amdhsa_reserve_flat_scratch 0
		.amdhsa_float_round_mode_32 0
		.amdhsa_float_round_mode_16_64 0
		.amdhsa_float_denorm_mode_32 3
		.amdhsa_float_denorm_mode_16_64 3
		.amdhsa_dx10_clamp 1
		.amdhsa_ieee_mode 1
		.amdhsa_fp16_overflow 0
		.amdhsa_tg_split 0
		.amdhsa_exception_fp_ieee_invalid_op 0
		.amdhsa_exception_fp_denorm_src 0
		.amdhsa_exception_fp_ieee_div_zero 0
		.amdhsa_exception_fp_ieee_overflow 0
		.amdhsa_exception_fp_ieee_underflow 0
		.amdhsa_exception_fp_ieee_inexact 0
		.amdhsa_exception_int_div_zero 0
	.end_amdhsa_kernel
	.section	.text._Z21subtract_right_kernelItii10custom_op1Lj100ELj3EEvPKT_PT1_,"axG",@progbits,_Z21subtract_right_kernelItii10custom_op1Lj100ELj3EEvPKT_PT1_,comdat
.Lfunc_end109:
	.size	_Z21subtract_right_kernelItii10custom_op1Lj100ELj3EEvPKT_PT1_, .Lfunc_end109-_Z21subtract_right_kernelItii10custom_op1Lj100ELj3EEvPKT_PT1_
                                        ; -- End function
	.section	.AMDGPU.csdata,"",@progbits
; Kernel info:
; codeLenInByte = 288
; NumSgprs: 14
; NumVgprs: 8
; NumAgprs: 0
; TotalNumVgprs: 8
; ScratchSize: 0
; MemoryBound: 0
; FloatMode: 240
; IeeeMode: 1
; LDSByteSize: 400 bytes/workgroup (compile time only)
; SGPRBlocks: 1
; VGPRBlocks: 0
; NumSGPRsForWavesPerEU: 14
; NumVGPRsForWavesPerEU: 8
; AccumOffset: 8
; Occupancy: 8
; WaveLimiterHint : 0
; COMPUTE_PGM_RSRC2:SCRATCH_EN: 0
; COMPUTE_PGM_RSRC2:USER_SGPR: 6
; COMPUTE_PGM_RSRC2:TRAP_HANDLER: 0
; COMPUTE_PGM_RSRC2:TGID_X_EN: 1
; COMPUTE_PGM_RSRC2:TGID_Y_EN: 0
; COMPUTE_PGM_RSRC2:TGID_Z_EN: 0
; COMPUTE_PGM_RSRC2:TIDIG_COMP_CNT: 0
; COMPUTE_PGM_RSRC3_GFX90A:ACCUM_OFFSET: 1
; COMPUTE_PGM_RSRC3_GFX90A:TG_SPLIT: 0
	.section	.text._Z21subtract_right_kernelIdjjN6hipcub3SumELj464ELj2EEvPKT_PT1_,"axG",@progbits,_Z21subtract_right_kernelIdjjN6hipcub3SumELj464ELj2EEvPKT_PT1_,comdat
	.protected	_Z21subtract_right_kernelIdjjN6hipcub3SumELj464ELj2EEvPKT_PT1_ ; -- Begin function _Z21subtract_right_kernelIdjjN6hipcub3SumELj464ELj2EEvPKT_PT1_
	.globl	_Z21subtract_right_kernelIdjjN6hipcub3SumELj464ELj2EEvPKT_PT1_
	.p2align	8
	.type	_Z21subtract_right_kernelIdjjN6hipcub3SumELj464ELj2EEvPKT_PT1_,@function
_Z21subtract_right_kernelIdjjN6hipcub3SumELj464ELj2EEvPKT_PT1_: ; @_Z21subtract_right_kernelIdjjN6hipcub3SumELj464ELj2EEvPKT_PT1_
; %bb.0:
	s_load_dwordx4 s[0:3], s[4:5], 0x0
	s_mul_i32 s4, s6, 0x3a0
	s_mov_b32 s5, 0
	s_lshl_b64 s[8:9], s[4:5], 3
	v_lshlrev_b32_e32 v1, 4, v0
	s_waitcnt lgkmcnt(0)
	s_add_u32 s8, s0, s8
	s_addc_u32 s9, s1, s9
	global_load_dwordx4 v[2:5], v1, s[8:9]
	s_bitcmp1_b32 s6, 0
	s_cselect_b64 s[6:7], -1, 0
	v_lshlrev_b32_e32 v8, 3, v0
	s_and_b64 vcc, exec, s[6:7]
	s_waitcnt vmcnt(0)
	v_add_f64 v[6:7], v[2:3], v[4:5]
	v_cvt_u32_f64_e32 v6, v[6:7]
	s_cbranch_vccz .LBB110_4
; %bb.1:
	s_movk_i32 s6, 0x1cf
	v_cvt_u32_f64_e32 v7, v[4:5]
	v_cmp_ne_u32_e32 vcc, s6, v0
	ds_write_b64 v8, v[2:3] offset:3712
	s_waitcnt lgkmcnt(0)
	s_barrier
	s_and_saveexec_b64 s[6:7], vcc
	s_cbranch_execz .LBB110_3
; %bb.2:
	ds_read_b64 v[10:11], v8 offset:3720
	s_waitcnt lgkmcnt(0)
	v_add_f64 v[10:11], v[4:5], v[10:11]
	v_cvt_u32_f64_e32 v7, v[10:11]
.LBB110_3:
	s_or_b64 exec, exec, s[6:7]
	v_lshlrev_b32_e32 v9, 1, v0
	s_cbranch_execz .LBB110_5
	s_branch .LBB110_8
.LBB110_4:
	v_lshlrev_b32_e32 v9, 1, v0
.LBB110_5:
	s_add_i32 s6, s4, 0x3a0
	s_mov_b32 s7, 0
	s_lshl_b64 s[6:7], s[6:7], 3
	s_add_u32 s0, s0, s6
	s_addc_u32 s1, s1, s7
	s_load_dwordx2 s[0:1], s[0:1], 0x0
	s_movk_i32 s6, 0x1cf
	v_cmp_ne_u32_e32 vcc, s6, v0
	ds_write_b64 v8, v[2:3] offset:3712
	s_waitcnt lgkmcnt(0)
	v_pk_mov_b32 v[0:1], s[0:1], s[0:1] op_sel:[0,1]
	s_barrier
	s_and_saveexec_b64 s[0:1], vcc
	s_cbranch_execz .LBB110_7
; %bb.6:
	ds_read_b64 v[0:1], v8 offset:3720
.LBB110_7:
	s_or_b64 exec, exec, s[0:1]
	s_waitcnt lgkmcnt(0)
	v_add_f64 v[0:1], v[4:5], v[0:1]
	v_cvt_u32_f64_e32 v7, v[0:1]
.LBB110_8:
	s_lshl_b64 s[0:1], s[4:5], 2
	s_add_u32 s0, s2, s0
	s_addc_u32 s1, s3, s1
	v_lshlrev_b32_e32 v0, 2, v9
	global_store_dwordx2 v0, v[6:7], s[0:1]
	s_endpgm
	.section	.rodata,"a",@progbits
	.p2align	6, 0x0
	.amdhsa_kernel _Z21subtract_right_kernelIdjjN6hipcub3SumELj464ELj2EEvPKT_PT1_
		.amdhsa_group_segment_fixed_size 7424
		.amdhsa_private_segment_fixed_size 0
		.amdhsa_kernarg_size 16
		.amdhsa_user_sgpr_count 6
		.amdhsa_user_sgpr_private_segment_buffer 1
		.amdhsa_user_sgpr_dispatch_ptr 0
		.amdhsa_user_sgpr_queue_ptr 0
		.amdhsa_user_sgpr_kernarg_segment_ptr 1
		.amdhsa_user_sgpr_dispatch_id 0
		.amdhsa_user_sgpr_flat_scratch_init 0
		.amdhsa_user_sgpr_kernarg_preload_length 0
		.amdhsa_user_sgpr_kernarg_preload_offset 0
		.amdhsa_user_sgpr_private_segment_size 0
		.amdhsa_uses_dynamic_stack 0
		.amdhsa_system_sgpr_private_segment_wavefront_offset 0
		.amdhsa_system_sgpr_workgroup_id_x 1
		.amdhsa_system_sgpr_workgroup_id_y 0
		.amdhsa_system_sgpr_workgroup_id_z 0
		.amdhsa_system_sgpr_workgroup_info 0
		.amdhsa_system_vgpr_workitem_id 0
		.amdhsa_next_free_vgpr 12
		.amdhsa_next_free_sgpr 10
		.amdhsa_accum_offset 12
		.amdhsa_reserve_vcc 1
		.amdhsa_reserve_flat_scratch 0
		.amdhsa_float_round_mode_32 0
		.amdhsa_float_round_mode_16_64 0
		.amdhsa_float_denorm_mode_32 3
		.amdhsa_float_denorm_mode_16_64 3
		.amdhsa_dx10_clamp 1
		.amdhsa_ieee_mode 1
		.amdhsa_fp16_overflow 0
		.amdhsa_tg_split 0
		.amdhsa_exception_fp_ieee_invalid_op 0
		.amdhsa_exception_fp_denorm_src 0
		.amdhsa_exception_fp_ieee_div_zero 0
		.amdhsa_exception_fp_ieee_overflow 0
		.amdhsa_exception_fp_ieee_underflow 0
		.amdhsa_exception_fp_ieee_inexact 0
		.amdhsa_exception_int_div_zero 0
	.end_amdhsa_kernel
	.section	.text._Z21subtract_right_kernelIdjjN6hipcub3SumELj464ELj2EEvPKT_PT1_,"axG",@progbits,_Z21subtract_right_kernelIdjjN6hipcub3SumELj464ELj2EEvPKT_PT1_,comdat
.Lfunc_end110:
	.size	_Z21subtract_right_kernelIdjjN6hipcub3SumELj464ELj2EEvPKT_PT1_, .Lfunc_end110-_Z21subtract_right_kernelIdjjN6hipcub3SumELj464ELj2EEvPKT_PT1_
                                        ; -- End function
	.section	.AMDGPU.csdata,"",@progbits
; Kernel info:
; codeLenInByte = 292
; NumSgprs: 14
; NumVgprs: 12
; NumAgprs: 0
; TotalNumVgprs: 12
; ScratchSize: 0
; MemoryBound: 0
; FloatMode: 240
; IeeeMode: 1
; LDSByteSize: 7424 bytes/workgroup (compile time only)
; SGPRBlocks: 1
; VGPRBlocks: 1
; NumSGPRsForWavesPerEU: 14
; NumVGPRsForWavesPerEU: 12
; AccumOffset: 12
; Occupancy: 8
; WaveLimiterHint : 0
; COMPUTE_PGM_RSRC2:SCRATCH_EN: 0
; COMPUTE_PGM_RSRC2:USER_SGPR: 6
; COMPUTE_PGM_RSRC2:TRAP_HANDLER: 0
; COMPUTE_PGM_RSRC2:TGID_X_EN: 1
; COMPUTE_PGM_RSRC2:TGID_Y_EN: 0
; COMPUTE_PGM_RSRC2:TGID_Z_EN: 0
; COMPUTE_PGM_RSRC2:TIDIG_COMP_CNT: 0
; COMPUTE_PGM_RSRC3_GFX90A:ACCUM_OFFSET: 2
; COMPUTE_PGM_RSRC3_GFX90A:TG_SPLIT: 0
	.section	.text._Z21subtract_right_kernelIdii10custom_op2Lj33ELj5EEvPKT_PT1_,"axG",@progbits,_Z21subtract_right_kernelIdii10custom_op2Lj33ELj5EEvPKT_PT1_,comdat
	.protected	_Z21subtract_right_kernelIdii10custom_op2Lj33ELj5EEvPKT_PT1_ ; -- Begin function _Z21subtract_right_kernelIdii10custom_op2Lj33ELj5EEvPKT_PT1_
	.globl	_Z21subtract_right_kernelIdii10custom_op2Lj33ELj5EEvPKT_PT1_
	.p2align	8
	.type	_Z21subtract_right_kernelIdii10custom_op2Lj33ELj5EEvPKT_PT1_,@function
_Z21subtract_right_kernelIdii10custom_op2Lj33ELj5EEvPKT_PT1_: ; @_Z21subtract_right_kernelIdii10custom_op2Lj33ELj5EEvPKT_PT1_
; %bb.0:
	s_load_dwordx4 s[8:11], s[4:5], 0x0
	s_mul_i32 s2, s6, 0xa5
	s_mov_b32 s3, 0
	s_lshl_b64 s[0:1], s[2:3], 3
	v_mul_u32_u24_e32 v7, 5, v0
	s_waitcnt lgkmcnt(0)
	s_add_u32 s0, s8, s0
	s_addc_u32 s1, s9, s1
	v_lshlrev_b32_e32 v1, 3, v7
	global_load_dwordx4 v[8:11], v1, s[0:1]
	global_load_dwordx4 v[2:5], v1, s[0:1] offset:16
	global_load_dwordx2 v[12:13], v1, s[0:1] offset:32
	s_bitcmp1_b32 s6, 0
	s_cselect_b64 s[4:5], -1, 0
	v_lshlrev_b32_e32 v18, 3, v0
	v_cmp_ne_u32_e64 s[0:1], 32, v0
	s_and_b64 vcc, exec, s[4:5]
	s_waitcnt vmcnt(2)
	v_mov_b32_e32 v16, v10
	v_mov_b32_e32 v17, v11
	s_waitcnt vmcnt(1)
	v_mov_b32_e32 v14, v2
	v_mov_b32_e32 v15, v3
	;; [unrolled: 1-line block ×4, first 2 shown]
	s_cbranch_vccz .LBB111_4
; %bb.1:
	v_fma_f64 v[2:3], v[16:17], 2.0, -v[8:9]
	v_fma_f64 v[4:5], v[14:15], 2.0, -v[16:17]
	v_cvt_i32_f64_e32 v2, v[2:3]
	v_cvt_i32_f64_e32 v3, v[4:5]
	v_fma_f64 v[4:5], v[10:11], 2.0, -v[14:15]
	s_waitcnt vmcnt(0)
	v_fma_f64 v[20:21], v[12:13], 2.0, -v[10:11]
	v_cvt_i32_f64_e32 v4, v[4:5]
	v_cvt_i32_f64_e32 v5, v[20:21]
	v_cvt_i32_f64_e32 v1, v[12:13]
	ds_write_b64 v18, v[8:9] offset:264
	s_waitcnt lgkmcnt(0)
	; wave barrier
	s_waitcnt lgkmcnt(0)
	s_and_saveexec_b64 s[4:5], s[0:1]
	s_cbranch_execz .LBB111_3
; %bb.2:
	ds_read_b64 v[20:21], v18 offset:272
	s_waitcnt lgkmcnt(0)
	v_fma_f64 v[20:21], v[20:21], 2.0, -v[12:13]
	v_cvt_i32_f64_e32 v1, v[20:21]
.LBB111_3:
	s_or_b64 exec, exec, s[4:5]
	s_cbranch_execz .LBB111_5
	s_branch .LBB111_8
.LBB111_4:
                                        ; implicit-def: $vgpr1
                                        ; implicit-def: $vgpr2_vgpr3_vgpr4_vgpr5_vgpr6
.LBB111_5:
	s_add_i32 s0, s2, 0xa5
	s_mov_b32 s1, 0
	s_lshl_b64 s[0:1], s[0:1], 3
	s_add_u32 s0, s8, s0
	s_addc_u32 s1, s9, s1
	s_load_dwordx2 s[0:1], s[0:1], 0x0
	v_cmp_ne_u32_e32 vcc, 32, v0
	ds_write_b64 v18, v[8:9] offset:264
	s_waitcnt lgkmcnt(0)
	; wave barrier
	s_waitcnt lgkmcnt(0)
	v_pk_mov_b32 v[0:1], s[0:1], s[0:1] op_sel:[0,1]
	s_and_saveexec_b64 s[0:1], vcc
	s_cbranch_execz .LBB111_7
; %bb.6:
	ds_read_b64 v[0:1], v18 offset:272
.LBB111_7:
	s_or_b64 exec, exec, s[0:1]
	v_fma_f64 v[2:3], v[14:15], 2.0, -v[16:17]
	v_fma_f64 v[4:5], v[16:17], 2.0, -v[8:9]
	v_cvt_i32_f64_e32 v3, v[2:3]
	v_cvt_i32_f64_e32 v2, v[4:5]
	v_fma_f64 v[8:9], v[10:11], 2.0, -v[14:15]
	s_waitcnt vmcnt(0)
	v_fma_f64 v[4:5], v[12:13], 2.0, -v[10:11]
	s_waitcnt lgkmcnt(0)
	v_fma_f64 v[0:1], v[0:1], 2.0, -v[12:13]
	v_cvt_i32_f64_e32 v5, v[4:5]
	v_cvt_i32_f64_e32 v4, v[8:9]
	;; [unrolled: 1-line block ×3, first 2 shown]
.LBB111_8:
	s_lshl_b64 s[0:1], s[2:3], 2
	s_add_u32 s0, s10, s0
	s_addc_u32 s1, s11, s1
	v_lshlrev_b32_e32 v0, 2, v7
	global_store_dwordx4 v0, v[2:5], s[0:1]
	global_store_dword v0, v1, s[0:1] offset:16
	s_endpgm
	.section	.rodata,"a",@progbits
	.p2align	6, 0x0
	.amdhsa_kernel _Z21subtract_right_kernelIdii10custom_op2Lj33ELj5EEvPKT_PT1_
		.amdhsa_group_segment_fixed_size 528
		.amdhsa_private_segment_fixed_size 0
		.amdhsa_kernarg_size 16
		.amdhsa_user_sgpr_count 6
		.amdhsa_user_sgpr_private_segment_buffer 1
		.amdhsa_user_sgpr_dispatch_ptr 0
		.amdhsa_user_sgpr_queue_ptr 0
		.amdhsa_user_sgpr_kernarg_segment_ptr 1
		.amdhsa_user_sgpr_dispatch_id 0
		.amdhsa_user_sgpr_flat_scratch_init 0
		.amdhsa_user_sgpr_kernarg_preload_length 0
		.amdhsa_user_sgpr_kernarg_preload_offset 0
		.amdhsa_user_sgpr_private_segment_size 0
		.amdhsa_uses_dynamic_stack 0
		.amdhsa_system_sgpr_private_segment_wavefront_offset 0
		.amdhsa_system_sgpr_workgroup_id_x 1
		.amdhsa_system_sgpr_workgroup_id_y 0
		.amdhsa_system_sgpr_workgroup_id_z 0
		.amdhsa_system_sgpr_workgroup_info 0
		.amdhsa_system_vgpr_workitem_id 0
		.amdhsa_next_free_vgpr 22
		.amdhsa_next_free_sgpr 12
		.amdhsa_accum_offset 24
		.amdhsa_reserve_vcc 1
		.amdhsa_reserve_flat_scratch 0
		.amdhsa_float_round_mode_32 0
		.amdhsa_float_round_mode_16_64 0
		.amdhsa_float_denorm_mode_32 3
		.amdhsa_float_denorm_mode_16_64 3
		.amdhsa_dx10_clamp 1
		.amdhsa_ieee_mode 1
		.amdhsa_fp16_overflow 0
		.amdhsa_tg_split 0
		.amdhsa_exception_fp_ieee_invalid_op 0
		.amdhsa_exception_fp_denorm_src 0
		.amdhsa_exception_fp_ieee_div_zero 0
		.amdhsa_exception_fp_ieee_overflow 0
		.amdhsa_exception_fp_ieee_underflow 0
		.amdhsa_exception_fp_ieee_inexact 0
		.amdhsa_exception_int_div_zero 0
	.end_amdhsa_kernel
	.section	.text._Z21subtract_right_kernelIdii10custom_op2Lj33ELj5EEvPKT_PT1_,"axG",@progbits,_Z21subtract_right_kernelIdii10custom_op2Lj33ELj5EEvPKT_PT1_,comdat
.Lfunc_end111:
	.size	_Z21subtract_right_kernelIdii10custom_op2Lj33ELj5EEvPKT_PT1_, .Lfunc_end111-_Z21subtract_right_kernelIdii10custom_op2Lj33ELj5EEvPKT_PT1_
                                        ; -- End function
	.section	.AMDGPU.csdata,"",@progbits
; Kernel info:
; codeLenInByte = 428
; NumSgprs: 16
; NumVgprs: 22
; NumAgprs: 0
; TotalNumVgprs: 22
; ScratchSize: 0
; MemoryBound: 0
; FloatMode: 240
; IeeeMode: 1
; LDSByteSize: 528 bytes/workgroup (compile time only)
; SGPRBlocks: 1
; VGPRBlocks: 2
; NumSGPRsForWavesPerEU: 16
; NumVGPRsForWavesPerEU: 22
; AccumOffset: 24
; Occupancy: 8
; WaveLimiterHint : 0
; COMPUTE_PGM_RSRC2:SCRATCH_EN: 0
; COMPUTE_PGM_RSRC2:USER_SGPR: 6
; COMPUTE_PGM_RSRC2:TRAP_HANDLER: 0
; COMPUTE_PGM_RSRC2:TGID_X_EN: 1
; COMPUTE_PGM_RSRC2:TGID_Y_EN: 0
; COMPUTE_PGM_RSRC2:TGID_Z_EN: 0
; COMPUTE_PGM_RSRC2:TIDIG_COMP_CNT: 0
; COMPUTE_PGM_RSRC3_GFX90A:ACCUM_OFFSET: 5
; COMPUTE_PGM_RSRC3_GFX90A:TG_SPLIT: 0
	.section	.text._Z21subtract_right_kernelIsss10custom_op1Lj512ELj8EEvPKT_PT1_,"axG",@progbits,_Z21subtract_right_kernelIsss10custom_op1Lj512ELj8EEvPKT_PT1_,comdat
	.protected	_Z21subtract_right_kernelIsss10custom_op1Lj512ELj8EEvPKT_PT1_ ; -- Begin function _Z21subtract_right_kernelIsss10custom_op1Lj512ELj8EEvPKT_PT1_
	.globl	_Z21subtract_right_kernelIsss10custom_op1Lj512ELj8EEvPKT_PT1_
	.p2align	8
	.type	_Z21subtract_right_kernelIsss10custom_op1Lj512ELj8EEvPKT_PT1_,@function
_Z21subtract_right_kernelIsss10custom_op1Lj512ELj8EEvPKT_PT1_: ; @_Z21subtract_right_kernelIsss10custom_op1Lj512ELj8EEvPKT_PT1_
; %bb.0:
	s_load_dwordx4 s[0:3], s[4:5], 0x0
	s_lshl_b32 s8, s6, 12
	s_mov_b32 s9, 0
	s_lshl_b64 s[4:5], s[8:9], 1
	v_lshlrev_b32_e32 v1, 4, v0
	s_waitcnt lgkmcnt(0)
	s_add_u32 s10, s0, s4
	s_addc_u32 s11, s1, s5
	global_load_dwordx4 v[2:5], v1, s[10:11]
	s_bitcmp1_b32 s6, 0
	s_cselect_b64 s[6:7], -1, 0
	v_lshlrev_b32_e32 v11, 1, v0
	s_and_b64 vcc, exec, s[6:7]
	s_waitcnt vmcnt(0)
	v_lshrrev_b32_e32 v1, 16, v5
	v_alignbit_b32 v8, v5, v4, 16
	v_alignbit_b32 v12, v3, v2, 16
	;; [unrolled: 1-line block ×3, first 2 shown]
	v_sub_u16_e32 v10, v5, v1
	v_pk_sub_i16 v5, v4, v8
	s_cbranch_vccz .LBB112_4
; %bb.1:
	s_mov_b32 s9, 0x5040100
	s_movk_i32 s6, 0x1ff
	v_pk_sub_i16 v6, v2, v12
	v_pk_sub_i16 v7, v3, v13
	;; [unrolled: 1-line block ×3, first 2 shown]
	v_perm_b32 v9, v1, v10, s9
	v_cmp_ne_u32_e32 vcc, s6, v0
	ds_write_b16 v11, v2 offset:1024
	s_waitcnt lgkmcnt(0)
	s_barrier
	s_and_saveexec_b64 s[6:7], vcc
	s_cbranch_execz .LBB112_3
; %bb.2:
	ds_read_u16 v4, v11 offset:1026
	s_waitcnt lgkmcnt(0)
	v_sub_u16_e32 v4, v1, v4
	v_perm_b32 v9, v4, v9, s9
.LBB112_3:
	s_or_b64 exec, exec, s[6:7]
	v_lshlrev_b32_e32 v4, 3, v0
	s_cbranch_execz .LBB112_5
	s_branch .LBB112_8
.LBB112_4:
                                        ; implicit-def: $vgpr9
	v_lshlrev_b32_e32 v4, 3, v0
.LBB112_5:
	s_or_b32 s6, s8, 0x1000
	s_mov_b32 s7, 0
	s_lshl_b64 s[6:7], s[6:7], 1
	s_add_u32 s0, s0, s6
	s_addc_u32 s1, s1, s7
	v_mov_b32_e32 v6, 0
	global_load_ushort v8, v6, s[0:1]
	s_movk_i32 s0, 0x1ff
	v_cmp_ne_u32_e32 vcc, s0, v0
	ds_write_b16 v11, v2 offset:1024
	s_waitcnt lgkmcnt(0)
	s_barrier
	s_and_saveexec_b64 s[0:1], vcc
	s_cbranch_execz .LBB112_7
; %bb.6:
	s_waitcnt vmcnt(0)
	ds_read_u16 v8, v11 offset:1026
.LBB112_7:
	s_or_b64 exec, exec, s[0:1]
	s_waitcnt vmcnt(0) lgkmcnt(0)
	v_sub_u16_e32 v0, v1, v8
	s_mov_b32 s0, 0x5040100
	v_pk_sub_i16 v6, v2, v12
	v_pk_sub_i16 v7, v3, v13
	v_perm_b32 v9, v0, v10, s0
	v_mov_b32_e32 v8, v5
.LBB112_8:
	s_add_u32 s0, s2, s4
	s_addc_u32 s1, s3, s5
	v_lshlrev_b32_e32 v0, 1, v4
	global_store_dwordx4 v0, v[6:9], s[0:1]
	s_endpgm
	.section	.rodata,"a",@progbits
	.p2align	6, 0x0
	.amdhsa_kernel _Z21subtract_right_kernelIsss10custom_op1Lj512ELj8EEvPKT_PT1_
		.amdhsa_group_segment_fixed_size 2048
		.amdhsa_private_segment_fixed_size 0
		.amdhsa_kernarg_size 16
		.amdhsa_user_sgpr_count 6
		.amdhsa_user_sgpr_private_segment_buffer 1
		.amdhsa_user_sgpr_dispatch_ptr 0
		.amdhsa_user_sgpr_queue_ptr 0
		.amdhsa_user_sgpr_kernarg_segment_ptr 1
		.amdhsa_user_sgpr_dispatch_id 0
		.amdhsa_user_sgpr_flat_scratch_init 0
		.amdhsa_user_sgpr_kernarg_preload_length 0
		.amdhsa_user_sgpr_kernarg_preload_offset 0
		.amdhsa_user_sgpr_private_segment_size 0
		.amdhsa_uses_dynamic_stack 0
		.amdhsa_system_sgpr_private_segment_wavefront_offset 0
		.amdhsa_system_sgpr_workgroup_id_x 1
		.amdhsa_system_sgpr_workgroup_id_y 0
		.amdhsa_system_sgpr_workgroup_id_z 0
		.amdhsa_system_sgpr_workgroup_info 0
		.amdhsa_system_vgpr_workitem_id 0
		.amdhsa_next_free_vgpr 14
		.amdhsa_next_free_sgpr 12
		.amdhsa_accum_offset 16
		.amdhsa_reserve_vcc 1
		.amdhsa_reserve_flat_scratch 0
		.amdhsa_float_round_mode_32 0
		.amdhsa_float_round_mode_16_64 0
		.amdhsa_float_denorm_mode_32 3
		.amdhsa_float_denorm_mode_16_64 3
		.amdhsa_dx10_clamp 1
		.amdhsa_ieee_mode 1
		.amdhsa_fp16_overflow 0
		.amdhsa_tg_split 0
		.amdhsa_exception_fp_ieee_invalid_op 0
		.amdhsa_exception_fp_denorm_src 0
		.amdhsa_exception_fp_ieee_div_zero 0
		.amdhsa_exception_fp_ieee_overflow 0
		.amdhsa_exception_fp_ieee_underflow 0
		.amdhsa_exception_fp_ieee_inexact 0
		.amdhsa_exception_int_div_zero 0
	.end_amdhsa_kernel
	.section	.text._Z21subtract_right_kernelIsss10custom_op1Lj512ELj8EEvPKT_PT1_,"axG",@progbits,_Z21subtract_right_kernelIsss10custom_op1Lj512ELj8EEvPKT_PT1_,comdat
.Lfunc_end112:
	.size	_Z21subtract_right_kernelIsss10custom_op1Lj512ELj8EEvPKT_PT1_, .Lfunc_end112-_Z21subtract_right_kernelIsss10custom_op1Lj512ELj8EEvPKT_PT1_
                                        ; -- End function
	.section	.AMDGPU.csdata,"",@progbits
; Kernel info:
; codeLenInByte = 376
; NumSgprs: 16
; NumVgprs: 14
; NumAgprs: 0
; TotalNumVgprs: 14
; ScratchSize: 0
; MemoryBound: 0
; FloatMode: 240
; IeeeMode: 1
; LDSByteSize: 2048 bytes/workgroup (compile time only)
; SGPRBlocks: 1
; VGPRBlocks: 1
; NumSGPRsForWavesPerEU: 16
; NumVGPRsForWavesPerEU: 14
; AccumOffset: 16
; Occupancy: 8
; WaveLimiterHint : 0
; COMPUTE_PGM_RSRC2:SCRATCH_EN: 0
; COMPUTE_PGM_RSRC2:USER_SGPR: 6
; COMPUTE_PGM_RSRC2:TRAP_HANDLER: 0
; COMPUTE_PGM_RSRC2:TGID_X_EN: 1
; COMPUTE_PGM_RSRC2:TGID_Y_EN: 0
; COMPUTE_PGM_RSRC2:TGID_Z_EN: 0
; COMPUTE_PGM_RSRC2:TIDIG_COMP_CNT: 0
; COMPUTE_PGM_RSRC3_GFX90A:ACCUM_OFFSET: 3
; COMPUTE_PGM_RSRC3_GFX90A:TG_SPLIT: 0
	.section	.text._Z21subtract_right_kernelIthhN6hipcub3SumELj256ELj7EEvPKT_PT1_,"axG",@progbits,_Z21subtract_right_kernelIthhN6hipcub3SumELj256ELj7EEvPKT_PT1_,comdat
	.protected	_Z21subtract_right_kernelIthhN6hipcub3SumELj256ELj7EEvPKT_PT1_ ; -- Begin function _Z21subtract_right_kernelIthhN6hipcub3SumELj256ELj7EEvPKT_PT1_
	.globl	_Z21subtract_right_kernelIthhN6hipcub3SumELj256ELj7EEvPKT_PT1_
	.p2align	8
	.type	_Z21subtract_right_kernelIthhN6hipcub3SumELj256ELj7EEvPKT_PT1_,@function
_Z21subtract_right_kernelIthhN6hipcub3SumELj256ELj7EEvPKT_PT1_: ; @_Z21subtract_right_kernelIthhN6hipcub3SumELj256ELj7EEvPKT_PT1_
; %bb.0:
	s_load_dwordx4 s[0:3], s[4:5], 0x0
	s_mul_i32 s4, s6, 0x700
	s_mov_b32 s5, 0
	s_lshl_b64 s[8:9], s[4:5], 1
	v_mul_u32_u24_e32 v1, 7, v0
	s_waitcnt lgkmcnt(0)
	s_add_u32 s8, s0, s8
	s_addc_u32 s9, s1, s9
	v_lshlrev_b32_e32 v6, 1, v1
	global_load_dwordx3 v[2:4], v6, s[8:9]
	global_load_ushort v5, v6, s[8:9] offset:12
	s_bitcmp1_b32 s6, 0
	s_cselect_b64 s[6:7], -1, 0
	v_lshlrev_b32_e32 v9, 1, v0
	s_and_b64 vcc, exec, s[6:7]
	s_waitcnt vmcnt(1)
	v_add_u16_sdwa v10, v3, v2 dst_sel:DWORD dst_unused:UNUSED_PAD src0_sel:DWORD src1_sel:WORD_1
	v_add_u16_sdwa v11, v4, v3 dst_sel:DWORD dst_unused:UNUSED_PAD src0_sel:DWORD src1_sel:WORD_1
	v_add_u16_sdwa v6, v2, v2 dst_sel:DWORD dst_unused:UNUSED_PAD src0_sel:WORD_1 src1_sel:DWORD
	v_add_u16_sdwa v7, v3, v3 dst_sel:DWORD dst_unused:UNUSED_PAD src0_sel:WORD_1 src1_sel:DWORD
	;; [unrolled: 1-line block ×3, first 2 shown]
	s_waitcnt vmcnt(0)
	v_add_u16_sdwa v8, v5, v4 dst_sel:DWORD dst_unused:UNUSED_PAD src0_sel:DWORD src1_sel:WORD_1
	v_lshlrev_b16_e32 v10, 8, v10
	v_lshlrev_b16_e32 v11, 8, v11
	s_cbranch_vccz .LBB113_4
; %bb.1:
	s_movk_i32 s5, 0xff
	v_or_b32_sdwa v13, v6, v10 dst_sel:DWORD dst_unused:UNUSED_PAD src0_sel:BYTE_0 src1_sel:DWORD
	v_or_b32_sdwa v14, v7, v11 dst_sel:WORD_1 dst_unused:UNUSED_PAD src0_sel:BYTE_0 src1_sel:DWORD
	v_add_u16_sdwa v12, v4, v4 dst_sel:DWORD dst_unused:UNUSED_PAD src0_sel:WORD_1 src1_sel:DWORD
	v_add_u16_sdwa v4, v5, v4 dst_sel:DWORD dst_unused:UNUSED_PAD src0_sel:DWORD src1_sel:WORD_1
	v_or_b32_sdwa v13, v13, v14 dst_sel:DWORD dst_unused:UNUSED_PAD src0_sel:WORD_0 src1_sel:DWORD
	v_cmp_ne_u32_e32 vcc, s5, v0
	v_mov_b32_e32 v14, v5
	ds_write_b16 v9, v2 offset:512
	s_waitcnt lgkmcnt(0)
	s_barrier
	s_and_saveexec_b64 s[6:7], vcc
	s_cbranch_execz .LBB113_3
; %bb.2:
	ds_read_u8 v14, v9 offset:514
	s_mov_b32 s5, 0x3020104
	v_perm_b32 v13, v13, v13, s5
	s_waitcnt lgkmcnt(0)
	v_add_u16_e32 v14, v14, v5
.LBB113_3:
	s_or_b64 exec, exec, s[6:7]
	s_cbranch_execz .LBB113_5
	s_branch .LBB113_8
.LBB113_4:
                                        ; implicit-def: $vgpr14
                                        ; implicit-def: $vgpr4
                                        ; implicit-def: $vgpr12
                                        ; implicit-def: $vgpr13
.LBB113_5:
	s_add_i32 s6, s4, 0x700
	s_mov_b32 s7, 0
	s_lshl_b64 s[6:7], s[6:7], 1
	s_add_u32 s0, s0, s6
	s_addc_u32 s1, s1, s7
	v_mov_b32_e32 v4, 0
	global_load_ushort v4, v4, s[0:1]
	s_movk_i32 s0, 0xff
	v_cmp_ne_u32_e32 vcc, s0, v0
	ds_write_b16 v9, v2 offset:512
	s_waitcnt lgkmcnt(0)
	s_barrier
	s_and_saveexec_b64 s[0:1], vcc
	s_cbranch_execz .LBB113_7
; %bb.6:
	s_waitcnt vmcnt(0)
	ds_read_u16 v4, v9 offset:514
.LBB113_7:
	s_or_b64 exec, exec, s[0:1]
	v_or_b32_sdwa v0, v6, v10 dst_sel:DWORD dst_unused:UNUSED_PAD src0_sel:BYTE_0 src1_sel:DWORD
	v_or_b32_sdwa v2, v7, v11 dst_sel:WORD_1 dst_unused:UNUSED_PAD src0_sel:BYTE_0 src1_sel:DWORD
	s_waitcnt vmcnt(0) lgkmcnt(0)
	v_add_u16_e32 v14, v4, v5
	v_or_b32_sdwa v13, v0, v2 dst_sel:DWORD dst_unused:UNUSED_PAD src0_sel:WORD_0 src1_sel:DWORD
	v_mov_b32_e32 v4, v8
	v_mov_b32_e32 v12, v3
.LBB113_8:
	s_add_u32 s0, s2, s4
	s_addc_u32 s1, s3, 0
	v_mov_b32_e32 v2, s1
	v_add_co_u32_e32 v0, vcc, s0, v1
	v_addc_co_u32_e32 v1, vcc, 0, v2, vcc
	v_lshlrev_b16_e32 v2, 8, v4
	v_or_b32_sdwa v2, v12, v2 dst_sel:DWORD dst_unused:UNUSED_PAD src0_sel:BYTE_0 src1_sel:DWORD
	global_store_byte v[0:1], v14, off offset:6
	global_store_short v[0:1], v2, off offset:4
	global_store_dword v[0:1], v13, off
	s_endpgm
	.section	.rodata,"a",@progbits
	.p2align	6, 0x0
	.amdhsa_kernel _Z21subtract_right_kernelIthhN6hipcub3SumELj256ELj7EEvPKT_PT1_
		.amdhsa_group_segment_fixed_size 1024
		.amdhsa_private_segment_fixed_size 0
		.amdhsa_kernarg_size 16
		.amdhsa_user_sgpr_count 6
		.amdhsa_user_sgpr_private_segment_buffer 1
		.amdhsa_user_sgpr_dispatch_ptr 0
		.amdhsa_user_sgpr_queue_ptr 0
		.amdhsa_user_sgpr_kernarg_segment_ptr 1
		.amdhsa_user_sgpr_dispatch_id 0
		.amdhsa_user_sgpr_flat_scratch_init 0
		.amdhsa_user_sgpr_kernarg_preload_length 0
		.amdhsa_user_sgpr_kernarg_preload_offset 0
		.amdhsa_user_sgpr_private_segment_size 0
		.amdhsa_uses_dynamic_stack 0
		.amdhsa_system_sgpr_private_segment_wavefront_offset 0
		.amdhsa_system_sgpr_workgroup_id_x 1
		.amdhsa_system_sgpr_workgroup_id_y 0
		.amdhsa_system_sgpr_workgroup_id_z 0
		.amdhsa_system_sgpr_workgroup_info 0
		.amdhsa_system_vgpr_workitem_id 0
		.amdhsa_next_free_vgpr 15
		.amdhsa_next_free_sgpr 10
		.amdhsa_accum_offset 16
		.amdhsa_reserve_vcc 1
		.amdhsa_reserve_flat_scratch 0
		.amdhsa_float_round_mode_32 0
		.amdhsa_float_round_mode_16_64 0
		.amdhsa_float_denorm_mode_32 3
		.amdhsa_float_denorm_mode_16_64 3
		.amdhsa_dx10_clamp 1
		.amdhsa_ieee_mode 1
		.amdhsa_fp16_overflow 0
		.amdhsa_tg_split 0
		.amdhsa_exception_fp_ieee_invalid_op 0
		.amdhsa_exception_fp_denorm_src 0
		.amdhsa_exception_fp_ieee_div_zero 0
		.amdhsa_exception_fp_ieee_overflow 0
		.amdhsa_exception_fp_ieee_underflow 0
		.amdhsa_exception_fp_ieee_inexact 0
		.amdhsa_exception_int_div_zero 0
	.end_amdhsa_kernel
	.section	.text._Z21subtract_right_kernelIthhN6hipcub3SumELj256ELj7EEvPKT_PT1_,"axG",@progbits,_Z21subtract_right_kernelIthhN6hipcub3SumELj256ELj7EEvPKT_PT1_,comdat
.Lfunc_end113:
	.size	_Z21subtract_right_kernelIthhN6hipcub3SumELj256ELj7EEvPKT_PT1_, .Lfunc_end113-_Z21subtract_right_kernelIthhN6hipcub3SumELj256ELj7EEvPKT_PT1_
                                        ; -- End function
	.section	.AMDGPU.csdata,"",@progbits
; Kernel info:
; codeLenInByte = 448
; NumSgprs: 14
; NumVgprs: 15
; NumAgprs: 0
; TotalNumVgprs: 15
; ScratchSize: 0
; MemoryBound: 0
; FloatMode: 240
; IeeeMode: 1
; LDSByteSize: 1024 bytes/workgroup (compile time only)
; SGPRBlocks: 1
; VGPRBlocks: 1
; NumSGPRsForWavesPerEU: 14
; NumVGPRsForWavesPerEU: 15
; AccumOffset: 16
; Occupancy: 8
; WaveLimiterHint : 0
; COMPUTE_PGM_RSRC2:SCRATCH_EN: 0
; COMPUTE_PGM_RSRC2:USER_SGPR: 6
; COMPUTE_PGM_RSRC2:TRAP_HANDLER: 0
; COMPUTE_PGM_RSRC2:TGID_X_EN: 1
; COMPUTE_PGM_RSRC2:TGID_Y_EN: 0
; COMPUTE_PGM_RSRC2:TGID_Z_EN: 0
; COMPUTE_PGM_RSRC2:TIDIG_COMP_CNT: 0
; COMPUTE_PGM_RSRC3_GFX90A:ACCUM_OFFSET: 3
; COMPUTE_PGM_RSRC3_GFX90A:TG_SPLIT: 0
	.section	.text._Z21subtract_right_kernelIiss10custom_op2Lj128ELj4EEvPKT_PT1_,"axG",@progbits,_Z21subtract_right_kernelIiss10custom_op2Lj128ELj4EEvPKT_PT1_,comdat
	.protected	_Z21subtract_right_kernelIiss10custom_op2Lj128ELj4EEvPKT_PT1_ ; -- Begin function _Z21subtract_right_kernelIiss10custom_op2Lj128ELj4EEvPKT_PT1_
	.globl	_Z21subtract_right_kernelIiss10custom_op2Lj128ELj4EEvPKT_PT1_
	.p2align	8
	.type	_Z21subtract_right_kernelIiss10custom_op2Lj128ELj4EEvPKT_PT1_,@function
_Z21subtract_right_kernelIiss10custom_op2Lj128ELj4EEvPKT_PT1_: ; @_Z21subtract_right_kernelIiss10custom_op2Lj128ELj4EEvPKT_PT1_
; %bb.0:
	s_load_dwordx4 s[0:3], s[4:5], 0x0
	s_lshl_b32 s4, s6, 9
	s_mov_b32 s5, 0
	s_lshl_b64 s[8:9], s[4:5], 2
	v_lshlrev_b32_e32 v1, 4, v0
	s_waitcnt lgkmcnt(0)
	s_add_u32 s0, s0, s8
	s_addc_u32 s1, s1, s9
	global_load_dwordx4 v[2:5], v1, s[0:1]
	s_bitcmp1_b32 s6, 0
	s_cselect_b64 s[6:7], -1, 0
	v_lshlrev_b32_e32 v1, 2, v0
	s_and_b64 vcc, exec, s[6:7]
	s_waitcnt vmcnt(0)
	v_lshlrev_b32_e32 v9, 1, v3
	v_lshlrev_b32_e32 v10, 1, v4
	;; [unrolled: 1-line block ×3, first 2 shown]
	s_cbranch_vccz .LBB114_4
; %bb.1:
	v_sub_u32_e32 v6, v10, v3
	v_sub_u32_e32 v7, v9, v2
	;; [unrolled: 1-line block ×3, first 2 shown]
	s_mov_b32 s8, 0x5040100
	s_movk_i32 s6, 0x7f
	v_perm_b32 v6, v6, v7, s8
	v_perm_b32 v7, v5, v11, s8
	v_cmp_ne_u32_e32 vcc, s6, v0
	ds_write_b32 v1, v2 offset:512
	s_waitcnt lgkmcnt(0)
	s_barrier
	s_and_saveexec_b64 s[6:7], vcc
	s_cbranch_execz .LBB114_3
; %bb.2:
	ds_read_b32 v11, v1 offset:516
	s_waitcnt lgkmcnt(0)
	v_lshlrev_b32_e32 v11, 1, v11
	v_sub_u32_e32 v11, v11, v5
	v_perm_b32 v7, v11, v7, s8
.LBB114_3:
	s_or_b64 exec, exec, s[6:7]
	s_cbranch_execz .LBB114_5
	s_branch .LBB114_8
.LBB114_4:
                                        ; implicit-def: $vgpr6_vgpr7
.LBB114_5:
	s_load_dword s0, s[0:1], 0x800
	s_movk_i32 s1, 0x7f
	v_cmp_ne_u32_e32 vcc, s1, v0
	ds_write_b32 v1, v2 offset:512
	s_waitcnt lgkmcnt(0)
	v_mov_b32_e32 v0, s0
	s_barrier
	s_and_saveexec_b64 s[0:1], vcc
	s_cbranch_execz .LBB114_7
; %bb.6:
	ds_read_b32 v0, v1 offset:516
.LBB114_7:
	s_or_b64 exec, exec, s[0:1]
	v_sub_u32_e32 v3, v10, v3
	v_sub_u32_e32 v2, v9, v2
	s_mov_b32 s0, 0x5040100
	s_waitcnt lgkmcnt(0)
	v_lshlrev_b32_e32 v0, 1, v0
	v_perm_b32 v6, v3, v2, s0
	v_sub_u32_e32 v2, v8, v4
	v_sub_u32_e32 v0, v0, v5
	v_perm_b32 v7, v0, v2, s0
.LBB114_8:
	s_lshl_b64 s[0:1], s[4:5], 1
	s_add_u32 s0, s2, s0
	s_addc_u32 s1, s3, s1
	v_lshlrev_b32_e32 v0, 1, v1
	global_store_dwordx2 v0, v[6:7], s[0:1]
	s_endpgm
	.section	.rodata,"a",@progbits
	.p2align	6, 0x0
	.amdhsa_kernel _Z21subtract_right_kernelIiss10custom_op2Lj128ELj4EEvPKT_PT1_
		.amdhsa_group_segment_fixed_size 1024
		.amdhsa_private_segment_fixed_size 0
		.amdhsa_kernarg_size 16
		.amdhsa_user_sgpr_count 6
		.amdhsa_user_sgpr_private_segment_buffer 1
		.amdhsa_user_sgpr_dispatch_ptr 0
		.amdhsa_user_sgpr_queue_ptr 0
		.amdhsa_user_sgpr_kernarg_segment_ptr 1
		.amdhsa_user_sgpr_dispatch_id 0
		.amdhsa_user_sgpr_flat_scratch_init 0
		.amdhsa_user_sgpr_kernarg_preload_length 0
		.amdhsa_user_sgpr_kernarg_preload_offset 0
		.amdhsa_user_sgpr_private_segment_size 0
		.amdhsa_uses_dynamic_stack 0
		.amdhsa_system_sgpr_private_segment_wavefront_offset 0
		.amdhsa_system_sgpr_workgroup_id_x 1
		.amdhsa_system_sgpr_workgroup_id_y 0
		.amdhsa_system_sgpr_workgroup_id_z 0
		.amdhsa_system_sgpr_workgroup_info 0
		.amdhsa_system_vgpr_workitem_id 0
		.amdhsa_next_free_vgpr 12
		.amdhsa_next_free_sgpr 10
		.amdhsa_accum_offset 12
		.amdhsa_reserve_vcc 1
		.amdhsa_reserve_flat_scratch 0
		.amdhsa_float_round_mode_32 0
		.amdhsa_float_round_mode_16_64 0
		.amdhsa_float_denorm_mode_32 3
		.amdhsa_float_denorm_mode_16_64 3
		.amdhsa_dx10_clamp 1
		.amdhsa_ieee_mode 1
		.amdhsa_fp16_overflow 0
		.amdhsa_tg_split 0
		.amdhsa_exception_fp_ieee_invalid_op 0
		.amdhsa_exception_fp_denorm_src 0
		.amdhsa_exception_fp_ieee_div_zero 0
		.amdhsa_exception_fp_ieee_overflow 0
		.amdhsa_exception_fp_ieee_underflow 0
		.amdhsa_exception_fp_ieee_inexact 0
		.amdhsa_exception_int_div_zero 0
	.end_amdhsa_kernel
	.section	.text._Z21subtract_right_kernelIiss10custom_op2Lj128ELj4EEvPKT_PT1_,"axG",@progbits,_Z21subtract_right_kernelIiss10custom_op2Lj128ELj4EEvPKT_PT1_,comdat
.Lfunc_end114:
	.size	_Z21subtract_right_kernelIiss10custom_op2Lj128ELj4EEvPKT_PT1_, .Lfunc_end114-_Z21subtract_right_kernelIiss10custom_op2Lj128ELj4EEvPKT_PT1_
                                        ; -- End function
	.section	.AMDGPU.csdata,"",@progbits
; Kernel info:
; codeLenInByte = 320
; NumSgprs: 14
; NumVgprs: 12
; NumAgprs: 0
; TotalNumVgprs: 12
; ScratchSize: 0
; MemoryBound: 0
; FloatMode: 240
; IeeeMode: 1
; LDSByteSize: 1024 bytes/workgroup (compile time only)
; SGPRBlocks: 1
; VGPRBlocks: 1
; NumSGPRsForWavesPerEU: 14
; NumVGPRsForWavesPerEU: 12
; AccumOffset: 12
; Occupancy: 8
; WaveLimiterHint : 0
; COMPUTE_PGM_RSRC2:SCRATCH_EN: 0
; COMPUTE_PGM_RSRC2:USER_SGPR: 6
; COMPUTE_PGM_RSRC2:TRAP_HANDLER: 0
; COMPUTE_PGM_RSRC2:TGID_X_EN: 1
; COMPUTE_PGM_RSRC2:TGID_Y_EN: 0
; COMPUTE_PGM_RSRC2:TGID_Z_EN: 0
; COMPUTE_PGM_RSRC2:TIDIG_COMP_CNT: 0
; COMPUTE_PGM_RSRC3_GFX90A:ACCUM_OFFSET: 2
; COMPUTE_PGM_RSRC3_GFX90A:TG_SPLIT: 0
	.section	.text._Z21subtract_right_kernelIicc10custom_op1Lj64ELj2EEvPKT_PT1_,"axG",@progbits,_Z21subtract_right_kernelIicc10custom_op1Lj64ELj2EEvPKT_PT1_,comdat
	.protected	_Z21subtract_right_kernelIicc10custom_op1Lj64ELj2EEvPKT_PT1_ ; -- Begin function _Z21subtract_right_kernelIicc10custom_op1Lj64ELj2EEvPKT_PT1_
	.globl	_Z21subtract_right_kernelIicc10custom_op1Lj64ELj2EEvPKT_PT1_
	.p2align	8
	.type	_Z21subtract_right_kernelIicc10custom_op1Lj64ELj2EEvPKT_PT1_,@function
_Z21subtract_right_kernelIicc10custom_op1Lj64ELj2EEvPKT_PT1_: ; @_Z21subtract_right_kernelIicc10custom_op1Lj64ELj2EEvPKT_PT1_
; %bb.0:
	s_load_dwordx4 s[0:3], s[4:5], 0x0
	s_lshl_b32 s4, s6, 7
	s_mov_b32 s5, 0
	s_lshl_b64 s[8:9], s[4:5], 2
	v_lshlrev_b32_e32 v1, 3, v0
	s_waitcnt lgkmcnt(0)
	s_add_u32 s8, s0, s8
	s_addc_u32 s9, s1, s9
	global_load_dwordx2 v[2:3], v1, s[8:9]
	s_bitcmp1_b32 s6, 0
	s_cselect_b64 s[6:7], -1, 0
	v_lshlrev_b32_e32 v4, 2, v0
	v_cmp_ne_u32_e64 s[0:1], 63, v0
	s_and_b64 vcc, exec, s[6:7]
	s_waitcnt vmcnt(0)
	v_sub_u32_e32 v1, v2, v3
	s_cbranch_vccz .LBB115_4
; %bb.1:
	v_lshlrev_b16_e32 v5, 8, v3
	v_or_b32_sdwa v5, v1, v5 dst_sel:DWORD dst_unused:UNUSED_PAD src0_sel:BYTE_0 src1_sel:DWORD
	v_and_b32_e32 v5, 0xffff, v5
	ds_write_b32 v4, v2 offset:256
	s_waitcnt lgkmcnt(0)
	; wave barrier
	s_waitcnt lgkmcnt(0)
	s_and_saveexec_b64 s[6:7], s[0:1]
	s_cbranch_execz .LBB115_3
; %bb.2:
	ds_read_b32 v6, v4 offset:260
	s_waitcnt lgkmcnt(0)
	v_sub_u32_sdwa v6, v3, v6 dst_sel:BYTE_1 dst_unused:UNUSED_PAD src0_sel:DWORD src1_sel:DWORD
	v_or_b32_sdwa v5, v5, v6 dst_sel:DWORD dst_unused:UNUSED_PAD src0_sel:BYTE_0 src1_sel:DWORD
	v_and_b32_e32 v5, 0xffff, v5
.LBB115_3:
	s_or_b64 exec, exec, s[6:7]
	v_lshlrev_b32_e32 v6, 1, v0
	s_cbranch_execz .LBB115_5
	s_branch .LBB115_8
.LBB115_4:
                                        ; implicit-def: $vgpr5
	v_lshlrev_b32_e32 v6, 1, v0
.LBB115_5:
	s_load_dword s0, s[8:9], 0x200
	v_cmp_ne_u32_e32 vcc, 63, v0
	ds_write_b32 v4, v2 offset:256
	s_waitcnt lgkmcnt(0)
	; wave barrier
	s_waitcnt lgkmcnt(0)
	v_mov_b32_e32 v0, s0
	s_and_saveexec_b64 s[0:1], vcc
	s_cbranch_execz .LBB115_7
; %bb.6:
	ds_read_b32 v0, v4 offset:260
.LBB115_7:
	s_or_b64 exec, exec, s[0:1]
	s_waitcnt lgkmcnt(0)
	v_sub_u32_sdwa v0, v3, v0 dst_sel:BYTE_1 dst_unused:UNUSED_PAD src0_sel:DWORD src1_sel:DWORD
	v_or_b32_sdwa v0, v1, v0 dst_sel:DWORD dst_unused:UNUSED_PAD src0_sel:BYTE_0 src1_sel:DWORD
	v_and_b32_e32 v5, 0xffff, v0
.LBB115_8:
	s_add_u32 s0, s2, s4
	s_addc_u32 s1, s3, 0
	v_mov_b32_e32 v1, s1
	v_add_co_u32_e32 v0, vcc, s0, v6
	v_addc_co_u32_e32 v1, vcc, 0, v1, vcc
	global_store_short v[0:1], v5, off
	s_endpgm
	.section	.rodata,"a",@progbits
	.p2align	6, 0x0
	.amdhsa_kernel _Z21subtract_right_kernelIicc10custom_op1Lj64ELj2EEvPKT_PT1_
		.amdhsa_group_segment_fixed_size 512
		.amdhsa_private_segment_fixed_size 0
		.amdhsa_kernarg_size 16
		.amdhsa_user_sgpr_count 6
		.amdhsa_user_sgpr_private_segment_buffer 1
		.amdhsa_user_sgpr_dispatch_ptr 0
		.amdhsa_user_sgpr_queue_ptr 0
		.amdhsa_user_sgpr_kernarg_segment_ptr 1
		.amdhsa_user_sgpr_dispatch_id 0
		.amdhsa_user_sgpr_flat_scratch_init 0
		.amdhsa_user_sgpr_kernarg_preload_length 0
		.amdhsa_user_sgpr_kernarg_preload_offset 0
		.amdhsa_user_sgpr_private_segment_size 0
		.amdhsa_uses_dynamic_stack 0
		.amdhsa_system_sgpr_private_segment_wavefront_offset 0
		.amdhsa_system_sgpr_workgroup_id_x 1
		.amdhsa_system_sgpr_workgroup_id_y 0
		.amdhsa_system_sgpr_workgroup_id_z 0
		.amdhsa_system_sgpr_workgroup_info 0
		.amdhsa_system_vgpr_workitem_id 0
		.amdhsa_next_free_vgpr 7
		.amdhsa_next_free_sgpr 10
		.amdhsa_accum_offset 8
		.amdhsa_reserve_vcc 1
		.amdhsa_reserve_flat_scratch 0
		.amdhsa_float_round_mode_32 0
		.amdhsa_float_round_mode_16_64 0
		.amdhsa_float_denorm_mode_32 3
		.amdhsa_float_denorm_mode_16_64 3
		.amdhsa_dx10_clamp 1
		.amdhsa_ieee_mode 1
		.amdhsa_fp16_overflow 0
		.amdhsa_tg_split 0
		.amdhsa_exception_fp_ieee_invalid_op 0
		.amdhsa_exception_fp_denorm_src 0
		.amdhsa_exception_fp_ieee_div_zero 0
		.amdhsa_exception_fp_ieee_overflow 0
		.amdhsa_exception_fp_ieee_underflow 0
		.amdhsa_exception_fp_ieee_inexact 0
		.amdhsa_exception_int_div_zero 0
	.end_amdhsa_kernel
	.section	.text._Z21subtract_right_kernelIicc10custom_op1Lj64ELj2EEvPKT_PT1_,"axG",@progbits,_Z21subtract_right_kernelIicc10custom_op1Lj64ELj2EEvPKT_PT1_,comdat
.Lfunc_end115:
	.size	_Z21subtract_right_kernelIicc10custom_op1Lj64ELj2EEvPKT_PT1_, .Lfunc_end115-_Z21subtract_right_kernelIicc10custom_op1Lj64ELj2EEvPKT_PT1_
                                        ; -- End function
	.section	.AMDGPU.csdata,"",@progbits
; Kernel info:
; codeLenInByte = 292
; NumSgprs: 14
; NumVgprs: 7
; NumAgprs: 0
; TotalNumVgprs: 7
; ScratchSize: 0
; MemoryBound: 0
; FloatMode: 240
; IeeeMode: 1
; LDSByteSize: 512 bytes/workgroup (compile time only)
; SGPRBlocks: 1
; VGPRBlocks: 0
; NumSGPRsForWavesPerEU: 14
; NumVGPRsForWavesPerEU: 7
; AccumOffset: 8
; Occupancy: 8
; WaveLimiterHint : 0
; COMPUTE_PGM_RSRC2:SCRATCH_EN: 0
; COMPUTE_PGM_RSRC2:USER_SGPR: 6
; COMPUTE_PGM_RSRC2:TRAP_HANDLER: 0
; COMPUTE_PGM_RSRC2:TGID_X_EN: 1
; COMPUTE_PGM_RSRC2:TGID_Y_EN: 0
; COMPUTE_PGM_RSRC2:TGID_Z_EN: 0
; COMPUTE_PGM_RSRC2:TIDIG_COMP_CNT: 0
; COMPUTE_PGM_RSRC3_GFX90A:ACCUM_OFFSET: 1
; COMPUTE_PGM_RSRC3_GFX90A:TG_SPLIT: 0
	.section	.text._Z21subtract_right_kernelIhbiN6hipcub3SumELj255ELj1EEvPKT_PT1_,"axG",@progbits,_Z21subtract_right_kernelIhbiN6hipcub3SumELj255ELj1EEvPKT_PT1_,comdat
	.protected	_Z21subtract_right_kernelIhbiN6hipcub3SumELj255ELj1EEvPKT_PT1_ ; -- Begin function _Z21subtract_right_kernelIhbiN6hipcub3SumELj255ELj1EEvPKT_PT1_
	.globl	_Z21subtract_right_kernelIhbiN6hipcub3SumELj255ELj1EEvPKT_PT1_
	.p2align	8
	.type	_Z21subtract_right_kernelIhbiN6hipcub3SumELj255ELj1EEvPKT_PT1_,@function
_Z21subtract_right_kernelIhbiN6hipcub3SumELj255ELj1EEvPKT_PT1_: ; @_Z21subtract_right_kernelIhbiN6hipcub3SumELj255ELj1EEvPKT_PT1_
; %bb.0:
	s_load_dwordx4 s[0:3], s[4:5], 0x0
	s_mul_i32 s4, s6, 0xff
	s_mov_b32 s5, 0
	s_waitcnt lgkmcnt(0)
	s_add_u32 s8, s0, s4
	s_addc_u32 s9, s1, 0
	global_load_ubyte v1, v0, s[8:9]
	s_bitcmp1_b32 s6, 0
	s_cselect_b64 s[6:7], -1, 0
	s_and_b64 vcc, exec, s[6:7]
	s_cbranch_vccz .LBB116_4
; %bb.1:
	s_movk_i32 s6, 0xfe
	v_cmp_ne_u32_e32 vcc, s6, v0
	s_waitcnt vmcnt(0)
	v_mov_b32_e32 v2, v1
	ds_write_b8 v0, v1 offset:255
	s_waitcnt lgkmcnt(0)
	s_barrier
	s_and_saveexec_b64 s[6:7], vcc
	s_cbranch_execz .LBB116_3
; %bb.2:
	ds_read_u8 v2, v0 offset:256
	s_waitcnt lgkmcnt(0)
	v_or_b32_e32 v2, v2, v1
.LBB116_3:
	s_or_b64 exec, exec, s[6:7]
	s_cbranch_execz .LBB116_5
	s_branch .LBB116_8
.LBB116_4:
                                        ; implicit-def: $vgpr2
.LBB116_5:
	s_add_i32 s6, s4, 0xff
	v_mov_b32_e32 v2, s6
	global_load_ubyte v2, v2, s[0:1]
	s_movk_i32 s0, 0xfe
	v_cmp_ne_u32_e32 vcc, s0, v0
	s_waitcnt vmcnt(1)
	ds_write_b8 v0, v1 offset:255
	s_waitcnt lgkmcnt(0)
	s_barrier
	s_and_saveexec_b64 s[0:1], vcc
	s_cbranch_execz .LBB116_7
; %bb.6:
	s_waitcnt vmcnt(0)
	ds_read_u8 v2, v0 offset:256
.LBB116_7:
	s_or_b64 exec, exec, s[0:1]
	s_waitcnt vmcnt(0) lgkmcnt(0)
	v_or_b32_e32 v2, v2, v1
.LBB116_8:
	s_lshl_b64 s[0:1], s[4:5], 2
	s_waitcnt vmcnt(0)
	v_mov_b32_e32 v1, 0
	s_add_u32 s0, s2, s0
	s_addc_u32 s1, s3, s1
	v_cmp_ne_u16_sdwa s[2:3], v2, v1 src0_sel:BYTE_0 src1_sel:DWORD
	v_lshlrev_b32_e32 v0, 2, v0
	v_cndmask_b32_e64 v1, 0, 1, s[2:3]
	global_store_dword v0, v1, s[0:1]
	s_endpgm
	.section	.rodata,"a",@progbits
	.p2align	6, 0x0
	.amdhsa_kernel _Z21subtract_right_kernelIhbiN6hipcub3SumELj255ELj1EEvPKT_PT1_
		.amdhsa_group_segment_fixed_size 510
		.amdhsa_private_segment_fixed_size 0
		.amdhsa_kernarg_size 16
		.amdhsa_user_sgpr_count 6
		.amdhsa_user_sgpr_private_segment_buffer 1
		.amdhsa_user_sgpr_dispatch_ptr 0
		.amdhsa_user_sgpr_queue_ptr 0
		.amdhsa_user_sgpr_kernarg_segment_ptr 1
		.amdhsa_user_sgpr_dispatch_id 0
		.amdhsa_user_sgpr_flat_scratch_init 0
		.amdhsa_user_sgpr_kernarg_preload_length 0
		.amdhsa_user_sgpr_kernarg_preload_offset 0
		.amdhsa_user_sgpr_private_segment_size 0
		.amdhsa_uses_dynamic_stack 0
		.amdhsa_system_sgpr_private_segment_wavefront_offset 0
		.amdhsa_system_sgpr_workgroup_id_x 1
		.amdhsa_system_sgpr_workgroup_id_y 0
		.amdhsa_system_sgpr_workgroup_id_z 0
		.amdhsa_system_sgpr_workgroup_info 0
		.amdhsa_system_vgpr_workitem_id 0
		.amdhsa_next_free_vgpr 3
		.amdhsa_next_free_sgpr 10
		.amdhsa_accum_offset 4
		.amdhsa_reserve_vcc 1
		.amdhsa_reserve_flat_scratch 0
		.amdhsa_float_round_mode_32 0
		.amdhsa_float_round_mode_16_64 0
		.amdhsa_float_denorm_mode_32 3
		.amdhsa_float_denorm_mode_16_64 3
		.amdhsa_dx10_clamp 1
		.amdhsa_ieee_mode 1
		.amdhsa_fp16_overflow 0
		.amdhsa_tg_split 0
		.amdhsa_exception_fp_ieee_invalid_op 0
		.amdhsa_exception_fp_denorm_src 0
		.amdhsa_exception_fp_ieee_div_zero 0
		.amdhsa_exception_fp_ieee_overflow 0
		.amdhsa_exception_fp_ieee_underflow 0
		.amdhsa_exception_fp_ieee_inexact 0
		.amdhsa_exception_int_div_zero 0
	.end_amdhsa_kernel
	.section	.text._Z21subtract_right_kernelIhbiN6hipcub3SumELj255ELj1EEvPKT_PT1_,"axG",@progbits,_Z21subtract_right_kernelIhbiN6hipcub3SumELj255ELj1EEvPKT_PT1_,comdat
.Lfunc_end116:
	.size	_Z21subtract_right_kernelIhbiN6hipcub3SumELj255ELj1EEvPKT_PT1_, .Lfunc_end116-_Z21subtract_right_kernelIhbiN6hipcub3SumELj255ELj1EEvPKT_PT1_
                                        ; -- End function
	.section	.AMDGPU.csdata,"",@progbits
; Kernel info:
; codeLenInByte = 256
; NumSgprs: 14
; NumVgprs: 3
; NumAgprs: 0
; TotalNumVgprs: 3
; ScratchSize: 0
; MemoryBound: 0
; FloatMode: 240
; IeeeMode: 1
; LDSByteSize: 510 bytes/workgroup (compile time only)
; SGPRBlocks: 1
; VGPRBlocks: 0
; NumSGPRsForWavesPerEU: 14
; NumVGPRsForWavesPerEU: 3
; AccumOffset: 4
; Occupancy: 8
; WaveLimiterHint : 0
; COMPUTE_PGM_RSRC2:SCRATCH_EN: 0
; COMPUTE_PGM_RSRC2:USER_SGPR: 6
; COMPUTE_PGM_RSRC2:TRAP_HANDLER: 0
; COMPUTE_PGM_RSRC2:TGID_X_EN: 1
; COMPUTE_PGM_RSRC2:TGID_Y_EN: 0
; COMPUTE_PGM_RSRC2:TGID_Z_EN: 0
; COMPUTE_PGM_RSRC2:TIDIG_COMP_CNT: 0
; COMPUTE_PGM_RSRC3_GFX90A:ACCUM_OFFSET: 0
; COMPUTE_PGM_RSRC3_GFX90A:TG_SPLIT: 0
	.section	.text._Z21subtract_right_kernelIjxx10custom_op2Lj162ELj1EEvPKT_PT1_,"axG",@progbits,_Z21subtract_right_kernelIjxx10custom_op2Lj162ELj1EEvPKT_PT1_,comdat
	.protected	_Z21subtract_right_kernelIjxx10custom_op2Lj162ELj1EEvPKT_PT1_ ; -- Begin function _Z21subtract_right_kernelIjxx10custom_op2Lj162ELj1EEvPKT_PT1_
	.globl	_Z21subtract_right_kernelIjxx10custom_op2Lj162ELj1EEvPKT_PT1_
	.p2align	8
	.type	_Z21subtract_right_kernelIjxx10custom_op2Lj162ELj1EEvPKT_PT1_,@function
_Z21subtract_right_kernelIjxx10custom_op2Lj162ELj1EEvPKT_PT1_: ; @_Z21subtract_right_kernelIjxx10custom_op2Lj162ELj1EEvPKT_PT1_
; %bb.0:
	s_load_dwordx4 s[0:3], s[4:5], 0x0
	s_mul_i32 s4, s6, 0xa2
	s_mov_b32 s5, 0
	s_lshl_b64 s[8:9], s[4:5], 2
	v_lshlrev_b32_e32 v3, 2, v0
	s_waitcnt lgkmcnt(0)
	s_add_u32 s8, s0, s8
	s_addc_u32 s9, s1, s9
	global_load_dword v1, v3, s[8:9]
	s_bitcmp1_b32 s6, 0
	s_cselect_b64 s[6:7], -1, 0
	s_and_b64 vcc, exec, s[6:7]
	s_cbranch_vccz .LBB117_4
; %bb.1:
	s_movk_i32 s6, 0xa1
	v_cmp_ne_u32_e32 vcc, s6, v0
	s_waitcnt vmcnt(0)
	v_mov_b32_e32 v2, v1
	ds_write_b32 v3, v1 offset:648
	s_waitcnt lgkmcnt(0)
	s_barrier
	s_and_saveexec_b64 s[6:7], vcc
	s_cbranch_execz .LBB117_3
; %bb.2:
	ds_read_b32 v2, v3 offset:652
	s_waitcnt lgkmcnt(0)
	v_lshlrev_b32_e32 v2, 1, v2
	v_sub_u32_e32 v2, v2, v1
.LBB117_3:
	s_or_b64 exec, exec, s[6:7]
	s_cbranch_execz .LBB117_5
	s_branch .LBB117_8
.LBB117_4:
                                        ; implicit-def: $vgpr2
.LBB117_5:
	s_add_i32 s6, s4, 0xa2
	s_mov_b32 s7, 0
	s_lshl_b64 s[6:7], s[6:7], 2
	s_add_u32 s0, s0, s6
	s_addc_u32 s1, s1, s7
	s_load_dword s0, s[0:1], 0x0
	s_movk_i32 s1, 0xa1
	v_cmp_ne_u32_e32 vcc, s1, v0
	s_waitcnt vmcnt(0)
	ds_write_b32 v3, v1 offset:648
	s_waitcnt lgkmcnt(0)
	v_mov_b32_e32 v2, s0
	s_barrier
	s_and_saveexec_b64 s[0:1], vcc
	s_cbranch_execz .LBB117_7
; %bb.6:
	ds_read_b32 v2, v3 offset:652
.LBB117_7:
	s_or_b64 exec, exec, s[0:1]
	s_waitcnt lgkmcnt(0)
	v_lshlrev_b32_e32 v2, 1, v2
	v_sub_u32_e32 v2, v2, v1
.LBB117_8:
	s_lshl_b64 s[0:1], s[4:5], 3
	s_add_u32 s0, s2, s0
	v_mov_b32_e32 v3, 0
	s_addc_u32 s1, s3, s1
	v_lshlrev_b32_e32 v0, 3, v0
	global_store_dwordx2 v0, v[2:3], s[0:1]
	s_endpgm
	.section	.rodata,"a",@progbits
	.p2align	6, 0x0
	.amdhsa_kernel _Z21subtract_right_kernelIjxx10custom_op2Lj162ELj1EEvPKT_PT1_
		.amdhsa_group_segment_fixed_size 1296
		.amdhsa_private_segment_fixed_size 0
		.amdhsa_kernarg_size 16
		.amdhsa_user_sgpr_count 6
		.amdhsa_user_sgpr_private_segment_buffer 1
		.amdhsa_user_sgpr_dispatch_ptr 0
		.amdhsa_user_sgpr_queue_ptr 0
		.amdhsa_user_sgpr_kernarg_segment_ptr 1
		.amdhsa_user_sgpr_dispatch_id 0
		.amdhsa_user_sgpr_flat_scratch_init 0
		.amdhsa_user_sgpr_kernarg_preload_length 0
		.amdhsa_user_sgpr_kernarg_preload_offset 0
		.amdhsa_user_sgpr_private_segment_size 0
		.amdhsa_uses_dynamic_stack 0
		.amdhsa_system_sgpr_private_segment_wavefront_offset 0
		.amdhsa_system_sgpr_workgroup_id_x 1
		.amdhsa_system_sgpr_workgroup_id_y 0
		.amdhsa_system_sgpr_workgroup_id_z 0
		.amdhsa_system_sgpr_workgroup_info 0
		.amdhsa_system_vgpr_workitem_id 0
		.amdhsa_next_free_vgpr 4
		.amdhsa_next_free_sgpr 10
		.amdhsa_accum_offset 4
		.amdhsa_reserve_vcc 1
		.amdhsa_reserve_flat_scratch 0
		.amdhsa_float_round_mode_32 0
		.amdhsa_float_round_mode_16_64 0
		.amdhsa_float_denorm_mode_32 3
		.amdhsa_float_denorm_mode_16_64 3
		.amdhsa_dx10_clamp 1
		.amdhsa_ieee_mode 1
		.amdhsa_fp16_overflow 0
		.amdhsa_tg_split 0
		.amdhsa_exception_fp_ieee_invalid_op 0
		.amdhsa_exception_fp_denorm_src 0
		.amdhsa_exception_fp_ieee_div_zero 0
		.amdhsa_exception_fp_ieee_overflow 0
		.amdhsa_exception_fp_ieee_underflow 0
		.amdhsa_exception_fp_ieee_inexact 0
		.amdhsa_exception_int_div_zero 0
	.end_amdhsa_kernel
	.section	.text._Z21subtract_right_kernelIjxx10custom_op2Lj162ELj1EEvPKT_PT1_,"axG",@progbits,_Z21subtract_right_kernelIjxx10custom_op2Lj162ELj1EEvPKT_PT1_,comdat
.Lfunc_end117:
	.size	_Z21subtract_right_kernelIjxx10custom_op2Lj162ELj1EEvPKT_PT1_, .Lfunc_end117-_Z21subtract_right_kernelIjxx10custom_op2Lj162ELj1EEvPKT_PT1_
                                        ; -- End function
	.section	.AMDGPU.csdata,"",@progbits
; Kernel info:
; codeLenInByte = 264
; NumSgprs: 14
; NumVgprs: 4
; NumAgprs: 0
; TotalNumVgprs: 4
; ScratchSize: 0
; MemoryBound: 0
; FloatMode: 240
; IeeeMode: 1
; LDSByteSize: 1296 bytes/workgroup (compile time only)
; SGPRBlocks: 1
; VGPRBlocks: 0
; NumSGPRsForWavesPerEU: 14
; NumVGPRsForWavesPerEU: 4
; AccumOffset: 4
; Occupancy: 8
; WaveLimiterHint : 0
; COMPUTE_PGM_RSRC2:SCRATCH_EN: 0
; COMPUTE_PGM_RSRC2:USER_SGPR: 6
; COMPUTE_PGM_RSRC2:TRAP_HANDLER: 0
; COMPUTE_PGM_RSRC2:TGID_X_EN: 1
; COMPUTE_PGM_RSRC2:TGID_Y_EN: 0
; COMPUTE_PGM_RSRC2:TGID_Z_EN: 0
; COMPUTE_PGM_RSRC2:TIDIG_COMP_CNT: 0
; COMPUTE_PGM_RSRC3_GFX90A:ACCUM_OFFSET: 0
; COMPUTE_PGM_RSRC3_GFX90A:TG_SPLIT: 0
	.section	.text._Z21subtract_right_kernelIxcc10custom_op1Lj510ELj1EEvPKT_PT1_,"axG",@progbits,_Z21subtract_right_kernelIxcc10custom_op1Lj510ELj1EEvPKT_PT1_,comdat
	.protected	_Z21subtract_right_kernelIxcc10custom_op1Lj510ELj1EEvPKT_PT1_ ; -- Begin function _Z21subtract_right_kernelIxcc10custom_op1Lj510ELj1EEvPKT_PT1_
	.globl	_Z21subtract_right_kernelIxcc10custom_op1Lj510ELj1EEvPKT_PT1_
	.p2align	8
	.type	_Z21subtract_right_kernelIxcc10custom_op1Lj510ELj1EEvPKT_PT1_,@function
_Z21subtract_right_kernelIxcc10custom_op1Lj510ELj1EEvPKT_PT1_: ; @_Z21subtract_right_kernelIxcc10custom_op1Lj510ELj1EEvPKT_PT1_
; %bb.0:
	s_load_dwordx4 s[0:3], s[4:5], 0x0
	s_mul_i32 s4, s6, 0x1fe
	s_mov_b32 s5, 0
	s_lshl_b64 s[8:9], s[4:5], 3
	v_lshlrev_b32_e32 v1, 3, v0
	s_waitcnt lgkmcnt(0)
	s_add_u32 s8, s0, s8
	s_addc_u32 s9, s1, s9
	global_load_dwordx2 v[2:3], v1, s[8:9]
	s_bitcmp1_b32 s6, 0
	s_cselect_b64 s[6:7], -1, 0
	s_and_b64 vcc, exec, s[6:7]
	s_cbranch_vccz .LBB118_4
; %bb.1:
	s_movk_i32 s5, 0x1fd
	v_cmp_ne_u32_e32 vcc, s5, v0
	s_waitcnt vmcnt(0)
	v_pk_mov_b32 v[4:5], v[2:3], v[2:3] op_sel:[0,1]
	ds_write_b64 v1, v[2:3] offset:4080
	s_waitcnt lgkmcnt(0)
	s_barrier
	s_and_saveexec_b64 s[6:7], vcc
	s_cbranch_execz .LBB118_3
; %bb.2:
	ds_read_b64 v[4:5], v1 offset:4088
	s_waitcnt lgkmcnt(0)
	v_sub_co_u32_e32 v4, vcc, v2, v4
.LBB118_3:
	s_or_b64 exec, exec, s[6:7]
	s_cbranch_execz .LBB118_5
	s_branch .LBB118_8
.LBB118_4:
                                        ; implicit-def: $vgpr4_vgpr5
.LBB118_5:
	s_add_i32 s6, s4, 0x1fe
	s_mov_b32 s7, 0
	s_lshl_b64 s[6:7], s[6:7], 3
	s_add_u32 s0, s0, s6
	s_addc_u32 s1, s1, s7
	s_load_dwordx2 s[0:1], s[0:1], 0x0
	s_movk_i32 s5, 0x1fd
	v_cmp_ne_u32_e32 vcc, s5, v0
	s_waitcnt vmcnt(0)
	ds_write_b64 v1, v[2:3] offset:4080
	s_waitcnt lgkmcnt(0)
	v_pk_mov_b32 v[4:5], s[0:1], s[0:1] op_sel:[0,1]
	s_barrier
	s_and_saveexec_b64 s[0:1], vcc
	s_cbranch_execz .LBB118_7
; %bb.6:
	ds_read_b64 v[4:5], v1 offset:4088
.LBB118_7:
	s_or_b64 exec, exec, s[0:1]
	s_waitcnt lgkmcnt(0)
	v_sub_co_u32_e32 v4, vcc, v2, v4
.LBB118_8:
	s_add_u32 s0, s2, s4
	s_addc_u32 s1, s3, 0
	v_mov_b32_e32 v1, s1
	v_add_co_u32_e32 v0, vcc, s0, v0
	v_addc_co_u32_e32 v1, vcc, 0, v1, vcc
	global_store_byte v[0:1], v4, off
	s_endpgm
	.section	.rodata,"a",@progbits
	.p2align	6, 0x0
	.amdhsa_kernel _Z21subtract_right_kernelIxcc10custom_op1Lj510ELj1EEvPKT_PT1_
		.amdhsa_group_segment_fixed_size 8160
		.amdhsa_private_segment_fixed_size 0
		.amdhsa_kernarg_size 16
		.amdhsa_user_sgpr_count 6
		.amdhsa_user_sgpr_private_segment_buffer 1
		.amdhsa_user_sgpr_dispatch_ptr 0
		.amdhsa_user_sgpr_queue_ptr 0
		.amdhsa_user_sgpr_kernarg_segment_ptr 1
		.amdhsa_user_sgpr_dispatch_id 0
		.amdhsa_user_sgpr_flat_scratch_init 0
		.amdhsa_user_sgpr_kernarg_preload_length 0
		.amdhsa_user_sgpr_kernarg_preload_offset 0
		.amdhsa_user_sgpr_private_segment_size 0
		.amdhsa_uses_dynamic_stack 0
		.amdhsa_system_sgpr_private_segment_wavefront_offset 0
		.amdhsa_system_sgpr_workgroup_id_x 1
		.amdhsa_system_sgpr_workgroup_id_y 0
		.amdhsa_system_sgpr_workgroup_id_z 0
		.amdhsa_system_sgpr_workgroup_info 0
		.amdhsa_system_vgpr_workitem_id 0
		.amdhsa_next_free_vgpr 6
		.amdhsa_next_free_sgpr 10
		.amdhsa_accum_offset 8
		.amdhsa_reserve_vcc 1
		.amdhsa_reserve_flat_scratch 0
		.amdhsa_float_round_mode_32 0
		.amdhsa_float_round_mode_16_64 0
		.amdhsa_float_denorm_mode_32 3
		.amdhsa_float_denorm_mode_16_64 3
		.amdhsa_dx10_clamp 1
		.amdhsa_ieee_mode 1
		.amdhsa_fp16_overflow 0
		.amdhsa_tg_split 0
		.amdhsa_exception_fp_ieee_invalid_op 0
		.amdhsa_exception_fp_denorm_src 0
		.amdhsa_exception_fp_ieee_div_zero 0
		.amdhsa_exception_fp_ieee_overflow 0
		.amdhsa_exception_fp_ieee_underflow 0
		.amdhsa_exception_fp_ieee_inexact 0
		.amdhsa_exception_int_div_zero 0
	.end_amdhsa_kernel
	.section	.text._Z21subtract_right_kernelIxcc10custom_op1Lj510ELj1EEvPKT_PT1_,"axG",@progbits,_Z21subtract_right_kernelIxcc10custom_op1Lj510ELj1EEvPKT_PT1_,comdat
.Lfunc_end118:
	.size	_Z21subtract_right_kernelIxcc10custom_op1Lj510ELj1EEvPKT_PT1_, .Lfunc_end118-_Z21subtract_right_kernelIxcc10custom_op1Lj510ELj1EEvPKT_PT1_
                                        ; -- End function
	.section	.AMDGPU.csdata,"",@progbits
; Kernel info:
; codeLenInByte = 264
; NumSgprs: 14
; NumVgprs: 6
; NumAgprs: 0
; TotalNumVgprs: 6
; ScratchSize: 0
; MemoryBound: 0
; FloatMode: 240
; IeeeMode: 1
; LDSByteSize: 8160 bytes/workgroup (compile time only)
; SGPRBlocks: 1
; VGPRBlocks: 0
; NumSGPRsForWavesPerEU: 14
; NumVGPRsForWavesPerEU: 6
; AccumOffset: 8
; Occupancy: 8
; WaveLimiterHint : 0
; COMPUTE_PGM_RSRC2:SCRATCH_EN: 0
; COMPUTE_PGM_RSRC2:USER_SGPR: 6
; COMPUTE_PGM_RSRC2:TRAP_HANDLER: 0
; COMPUTE_PGM_RSRC2:TGID_X_EN: 1
; COMPUTE_PGM_RSRC2:TGID_Y_EN: 0
; COMPUTE_PGM_RSRC2:TGID_Z_EN: 0
; COMPUTE_PGM_RSRC2:TIDIG_COMP_CNT: 0
; COMPUTE_PGM_RSRC3_GFX90A:ACCUM_OFFSET: 1
; COMPUTE_PGM_RSRC3_GFX90A:TG_SPLIT: 0
	.section	.text._Z21subtract_right_kernelIfiiN6hipcub3SumELj37ELj1EEvPKT_PT1_,"axG",@progbits,_Z21subtract_right_kernelIfiiN6hipcub3SumELj37ELj1EEvPKT_PT1_,comdat
	.protected	_Z21subtract_right_kernelIfiiN6hipcub3SumELj37ELj1EEvPKT_PT1_ ; -- Begin function _Z21subtract_right_kernelIfiiN6hipcub3SumELj37ELj1EEvPKT_PT1_
	.globl	_Z21subtract_right_kernelIfiiN6hipcub3SumELj37ELj1EEvPKT_PT1_
	.p2align	8
	.type	_Z21subtract_right_kernelIfiiN6hipcub3SumELj37ELj1EEvPKT_PT1_,@function
_Z21subtract_right_kernelIfiiN6hipcub3SumELj37ELj1EEvPKT_PT1_: ; @_Z21subtract_right_kernelIfiiN6hipcub3SumELj37ELj1EEvPKT_PT1_
; %bb.0:
	s_load_dwordx4 s[8:11], s[4:5], 0x0
	s_mul_i32 s4, s6, 37
	s_mov_b32 s5, 0
	s_lshl_b64 s[2:3], s[4:5], 2
	v_lshlrev_b32_e32 v1, 2, v0
	s_waitcnt lgkmcnt(0)
	s_add_u32 s0, s8, s2
	s_addc_u32 s1, s9, s3
	global_load_dword v2, v1, s[0:1]
	s_bitcmp1_b32 s6, 0
	s_cselect_b64 s[0:1], -1, 0
	s_and_b64 vcc, exec, s[0:1]
	v_cmp_ne_u32_e64 s[0:1], 36, v0
	s_cbranch_vccz .LBB119_4
; %bb.1:
	s_waitcnt vmcnt(0)
	v_mov_b32_e32 v3, v2
	ds_write_b32 v1, v2 offset:148
	s_waitcnt lgkmcnt(0)
	; wave barrier
	s_waitcnt lgkmcnt(0)
	s_and_saveexec_b64 s[6:7], s[0:1]
	s_cbranch_execz .LBB119_3
; %bb.2:
	ds_read_b32 v3, v1 offset:152
	s_waitcnt lgkmcnt(0)
	v_add_f32_e32 v3, v2, v3
.LBB119_3:
	s_or_b64 exec, exec, s[6:7]
	s_cbranch_execz .LBB119_5
	s_branch .LBB119_8
.LBB119_4:
                                        ; implicit-def: $vgpr3
.LBB119_5:
	s_add_i32 s0, s4, 37
	s_mov_b32 s1, 0
	s_lshl_b64 s[0:1], s[0:1], 2
	s_add_u32 s0, s8, s0
	s_addc_u32 s1, s9, s1
	s_load_dword s0, s[0:1], 0x0
	v_cmp_ne_u32_e32 vcc, 36, v0
	s_waitcnt vmcnt(0)
	ds_write_b32 v1, v2 offset:148
	s_waitcnt lgkmcnt(0)
	; wave barrier
	s_waitcnt lgkmcnt(0)
	v_mov_b32_e32 v0, s0
	s_and_saveexec_b64 s[0:1], vcc
	s_cbranch_execz .LBB119_7
; %bb.6:
	ds_read_b32 v0, v1 offset:152
.LBB119_7:
	s_or_b64 exec, exec, s[0:1]
	s_waitcnt lgkmcnt(0)
	v_add_f32_e32 v3, v2, v0
.LBB119_8:
	v_cvt_i32_f32_e32 v0, v3
	s_add_u32 s0, s10, s2
	s_addc_u32 s1, s11, s3
	global_store_dword v1, v0, s[0:1]
	s_endpgm
	.section	.rodata,"a",@progbits
	.p2align	6, 0x0
	.amdhsa_kernel _Z21subtract_right_kernelIfiiN6hipcub3SumELj37ELj1EEvPKT_PT1_
		.amdhsa_group_segment_fixed_size 296
		.amdhsa_private_segment_fixed_size 0
		.amdhsa_kernarg_size 16
		.amdhsa_user_sgpr_count 6
		.amdhsa_user_sgpr_private_segment_buffer 1
		.amdhsa_user_sgpr_dispatch_ptr 0
		.amdhsa_user_sgpr_queue_ptr 0
		.amdhsa_user_sgpr_kernarg_segment_ptr 1
		.amdhsa_user_sgpr_dispatch_id 0
		.amdhsa_user_sgpr_flat_scratch_init 0
		.amdhsa_user_sgpr_kernarg_preload_length 0
		.amdhsa_user_sgpr_kernarg_preload_offset 0
		.amdhsa_user_sgpr_private_segment_size 0
		.amdhsa_uses_dynamic_stack 0
		.amdhsa_system_sgpr_private_segment_wavefront_offset 0
		.amdhsa_system_sgpr_workgroup_id_x 1
		.amdhsa_system_sgpr_workgroup_id_y 0
		.amdhsa_system_sgpr_workgroup_id_z 0
		.amdhsa_system_sgpr_workgroup_info 0
		.amdhsa_system_vgpr_workitem_id 0
		.amdhsa_next_free_vgpr 4
		.amdhsa_next_free_sgpr 12
		.amdhsa_accum_offset 4
		.amdhsa_reserve_vcc 1
		.amdhsa_reserve_flat_scratch 0
		.amdhsa_float_round_mode_32 0
		.amdhsa_float_round_mode_16_64 0
		.amdhsa_float_denorm_mode_32 3
		.amdhsa_float_denorm_mode_16_64 3
		.amdhsa_dx10_clamp 1
		.amdhsa_ieee_mode 1
		.amdhsa_fp16_overflow 0
		.amdhsa_tg_split 0
		.amdhsa_exception_fp_ieee_invalid_op 0
		.amdhsa_exception_fp_denorm_src 0
		.amdhsa_exception_fp_ieee_div_zero 0
		.amdhsa_exception_fp_ieee_overflow 0
		.amdhsa_exception_fp_ieee_underflow 0
		.amdhsa_exception_fp_ieee_inexact 0
		.amdhsa_exception_int_div_zero 0
	.end_amdhsa_kernel
	.section	.text._Z21subtract_right_kernelIfiiN6hipcub3SumELj37ELj1EEvPKT_PT1_,"axG",@progbits,_Z21subtract_right_kernelIfiiN6hipcub3SumELj37ELj1EEvPKT_PT1_,comdat
.Lfunc_end119:
	.size	_Z21subtract_right_kernelIfiiN6hipcub3SumELj37ELj1EEvPKT_PT1_, .Lfunc_end119-_Z21subtract_right_kernelIfiiN6hipcub3SumELj37ELj1EEvPKT_PT1_
                                        ; -- End function
	.section	.AMDGPU.csdata,"",@progbits
; Kernel info:
; codeLenInByte = 236
; NumSgprs: 16
; NumVgprs: 4
; NumAgprs: 0
; TotalNumVgprs: 4
; ScratchSize: 0
; MemoryBound: 0
; FloatMode: 240
; IeeeMode: 1
; LDSByteSize: 296 bytes/workgroup (compile time only)
; SGPRBlocks: 1
; VGPRBlocks: 0
; NumSGPRsForWavesPerEU: 16
; NumVGPRsForWavesPerEU: 4
; AccumOffset: 4
; Occupancy: 8
; WaveLimiterHint : 0
; COMPUTE_PGM_RSRC2:SCRATCH_EN: 0
; COMPUTE_PGM_RSRC2:USER_SGPR: 6
; COMPUTE_PGM_RSRC2:TRAP_HANDLER: 0
; COMPUTE_PGM_RSRC2:TGID_X_EN: 1
; COMPUTE_PGM_RSRC2:TGID_Y_EN: 0
; COMPUTE_PGM_RSRC2:TGID_Z_EN: 0
; COMPUTE_PGM_RSRC2:TIDIG_COMP_CNT: 0
; COMPUTE_PGM_RSRC3_GFX90A:ACCUM_OFFSET: 0
; COMPUTE_PGM_RSRC3_GFX90A:TG_SPLIT: 0
	.section	.text._Z21subtract_right_kernelIibi10custom_op1Lj256ELj1EEvPKT_PT1_,"axG",@progbits,_Z21subtract_right_kernelIibi10custom_op1Lj256ELj1EEvPKT_PT1_,comdat
	.protected	_Z21subtract_right_kernelIibi10custom_op1Lj256ELj1EEvPKT_PT1_ ; -- Begin function _Z21subtract_right_kernelIibi10custom_op1Lj256ELj1EEvPKT_PT1_
	.globl	_Z21subtract_right_kernelIibi10custom_op1Lj256ELj1EEvPKT_PT1_
	.p2align	8
	.type	_Z21subtract_right_kernelIibi10custom_op1Lj256ELj1EEvPKT_PT1_,@function
_Z21subtract_right_kernelIibi10custom_op1Lj256ELj1EEvPKT_PT1_: ; @_Z21subtract_right_kernelIibi10custom_op1Lj256ELj1EEvPKT_PT1_
; %bb.0:
	s_load_dwordx4 s[0:3], s[4:5], 0x0
	s_lshl_b32 s8, s6, 8
	s_mov_b32 s9, 0
	s_lshl_b64 s[4:5], s[8:9], 2
	v_lshlrev_b32_e32 v1, 2, v0
	s_waitcnt lgkmcnt(0)
	s_add_u32 s10, s0, s4
	s_addc_u32 s11, s1, s5
	global_load_dword v2, v1, s[10:11]
	s_bitcmp1_b32 s6, 0
	s_cselect_b64 s[0:1], -1, 0
	s_and_b64 vcc, exec, s[0:1]
	s_cbranch_vccz .LBB120_2
; %bb.1:
	s_movk_i32 s0, 0xff
	v_cmp_ne_u32_e32 vcc, s0, v0
	s_waitcnt vmcnt(0)
	ds_write_b32 v1, v2 offset:1024
	s_waitcnt lgkmcnt(0)
	s_barrier
	s_and_b64 s[0:1], vcc, exec
	s_cbranch_execz .LBB120_3
	s_branch .LBB120_4
.LBB120_2:
	s_mov_b64 s[0:1], 0
                                        ; implicit-def: $sgpr9
.LBB120_3:
	s_load_dword s9, s[10:11], 0x400
	s_movk_i32 s6, 0xff
	v_cmp_ne_u32_e32 vcc, s6, v0
	s_andn2_b64 s[0:1], s[0:1], exec
	s_and_b64 s[6:7], vcc, exec
	s_or_b64 s[0:1], s[0:1], s[6:7]
	s_waitcnt vmcnt(0)
	ds_write_b32 v1, v2 offset:1024
	s_waitcnt lgkmcnt(0)
	s_barrier
.LBB120_4:
	v_mov_b32_e32 v0, s9
	s_and_saveexec_b64 s[6:7], s[0:1]
	s_cbranch_execz .LBB120_6
; %bb.5:
	ds_read_b32 v0, v1 offset:1028
.LBB120_6:
	s_or_b64 exec, exec, s[6:7]
	s_add_u32 s0, s2, s4
	s_waitcnt vmcnt(0) lgkmcnt(0)
	v_cmp_ne_u32_e32 vcc, v2, v0
	s_addc_u32 s1, s3, s5
	v_cndmask_b32_e64 v0, 0, 1, vcc
	global_store_dword v1, v0, s[0:1]
	s_endpgm
	.section	.rodata,"a",@progbits
	.p2align	6, 0x0
	.amdhsa_kernel _Z21subtract_right_kernelIibi10custom_op1Lj256ELj1EEvPKT_PT1_
		.amdhsa_group_segment_fixed_size 2048
		.amdhsa_private_segment_fixed_size 0
		.amdhsa_kernarg_size 16
		.amdhsa_user_sgpr_count 6
		.amdhsa_user_sgpr_private_segment_buffer 1
		.amdhsa_user_sgpr_dispatch_ptr 0
		.amdhsa_user_sgpr_queue_ptr 0
		.amdhsa_user_sgpr_kernarg_segment_ptr 1
		.amdhsa_user_sgpr_dispatch_id 0
		.amdhsa_user_sgpr_flat_scratch_init 0
		.amdhsa_user_sgpr_kernarg_preload_length 0
		.amdhsa_user_sgpr_kernarg_preload_offset 0
		.amdhsa_user_sgpr_private_segment_size 0
		.amdhsa_uses_dynamic_stack 0
		.amdhsa_system_sgpr_private_segment_wavefront_offset 0
		.amdhsa_system_sgpr_workgroup_id_x 1
		.amdhsa_system_sgpr_workgroup_id_y 0
		.amdhsa_system_sgpr_workgroup_id_z 0
		.amdhsa_system_sgpr_workgroup_info 0
		.amdhsa_system_vgpr_workitem_id 0
		.amdhsa_next_free_vgpr 3
		.amdhsa_next_free_sgpr 12
		.amdhsa_accum_offset 4
		.amdhsa_reserve_vcc 1
		.amdhsa_reserve_flat_scratch 0
		.amdhsa_float_round_mode_32 0
		.amdhsa_float_round_mode_16_64 0
		.amdhsa_float_denorm_mode_32 3
		.amdhsa_float_denorm_mode_16_64 3
		.amdhsa_dx10_clamp 1
		.amdhsa_ieee_mode 1
		.amdhsa_fp16_overflow 0
		.amdhsa_tg_split 0
		.amdhsa_exception_fp_ieee_invalid_op 0
		.amdhsa_exception_fp_denorm_src 0
		.amdhsa_exception_fp_ieee_div_zero 0
		.amdhsa_exception_fp_ieee_overflow 0
		.amdhsa_exception_fp_ieee_underflow 0
		.amdhsa_exception_fp_ieee_inexact 0
		.amdhsa_exception_int_div_zero 0
	.end_amdhsa_kernel
	.section	.text._Z21subtract_right_kernelIibi10custom_op1Lj256ELj1EEvPKT_PT1_,"axG",@progbits,_Z21subtract_right_kernelIibi10custom_op1Lj256ELj1EEvPKT_PT1_,comdat
.Lfunc_end120:
	.size	_Z21subtract_right_kernelIibi10custom_op1Lj256ELj1EEvPKT_PT1_, .Lfunc_end120-_Z21subtract_right_kernelIibi10custom_op1Lj256ELj1EEvPKT_PT1_
                                        ; -- End function
	.section	.AMDGPU.csdata,"",@progbits
; Kernel info:
; codeLenInByte = 212
; NumSgprs: 16
; NumVgprs: 3
; NumAgprs: 0
; TotalNumVgprs: 3
; ScratchSize: 0
; MemoryBound: 0
; FloatMode: 240
; IeeeMode: 1
; LDSByteSize: 2048 bytes/workgroup (compile time only)
; SGPRBlocks: 1
; VGPRBlocks: 0
; NumSGPRsForWavesPerEU: 16
; NumVGPRsForWavesPerEU: 3
; AccumOffset: 4
; Occupancy: 8
; WaveLimiterHint : 0
; COMPUTE_PGM_RSRC2:SCRATCH_EN: 0
; COMPUTE_PGM_RSRC2:USER_SGPR: 6
; COMPUTE_PGM_RSRC2:TRAP_HANDLER: 0
; COMPUTE_PGM_RSRC2:TGID_X_EN: 1
; COMPUTE_PGM_RSRC2:TGID_Y_EN: 0
; COMPUTE_PGM_RSRC2:TGID_Z_EN: 0
; COMPUTE_PGM_RSRC2:TIDIG_COMP_CNT: 0
; COMPUTE_PGM_RSRC3_GFX90A:ACCUM_OFFSET: 0
; COMPUTE_PGM_RSRC3_GFX90A:TG_SPLIT: 0
	.section	.text._Z21subtract_right_kernelI12hip_bfloat16ii10custom_op2Lj256ELj1EEvPKT_PT1_,"axG",@progbits,_Z21subtract_right_kernelI12hip_bfloat16ii10custom_op2Lj256ELj1EEvPKT_PT1_,comdat
	.protected	_Z21subtract_right_kernelI12hip_bfloat16ii10custom_op2Lj256ELj1EEvPKT_PT1_ ; -- Begin function _Z21subtract_right_kernelI12hip_bfloat16ii10custom_op2Lj256ELj1EEvPKT_PT1_
	.globl	_Z21subtract_right_kernelI12hip_bfloat16ii10custom_op2Lj256ELj1EEvPKT_PT1_
	.p2align	8
	.type	_Z21subtract_right_kernelI12hip_bfloat16ii10custom_op2Lj256ELj1EEvPKT_PT1_,@function
_Z21subtract_right_kernelI12hip_bfloat16ii10custom_op2Lj256ELj1EEvPKT_PT1_: ; @_Z21subtract_right_kernelI12hip_bfloat16ii10custom_op2Lj256ELj1EEvPKT_PT1_
; %bb.0:
	s_load_dwordx4 s[0:3], s[4:5], 0x0
	s_lshl_b32 s4, s6, 8
	s_mov_b32 s5, 0
	s_lshl_b64 s[8:9], s[4:5], 1
	v_lshlrev_b32_e32 v2, 1, v0
	s_waitcnt lgkmcnt(0)
	s_add_u32 s0, s0, s8
	s_addc_u32 s1, s1, s9
	global_load_ushort v3, v2, s[0:1]
	s_bitcmp1_b32 s6, 0
	s_cselect_b64 s[6:7], -1, 0
	s_and_b64 vcc, exec, s[6:7]
	s_waitcnt vmcnt(0)
	v_lshlrev_b32_e32 v1, 16, v3
	s_cbranch_vccz .LBB121_12
; %bb.1:
	s_movk_i32 s6, 0xff
	v_cmp_ne_u32_e32 vcc, s6, v0
	v_mov_b32_e32 v4, v1
	ds_write_b16 v2, v3 offset:512
	s_waitcnt lgkmcnt(0)
	s_barrier
	s_and_saveexec_b64 s[6:7], vcc
	s_cbranch_execz .LBB121_11
; %bb.2:
	ds_read_u16 v4, v2 offset:514
	s_mov_b32 s8, 0x7f800000
	s_waitcnt lgkmcnt(0)
	v_lshlrev_b32_e32 v4, 16, v4
	v_add_f32_e32 v4, v4, v4
	v_and_b32_e32 v5, 0x7f800000, v4
	v_cmp_ne_u32_e32 vcc, s8, v5
                                        ; implicit-def: $vgpr5
	s_and_saveexec_b64 s[8:9], vcc
	s_xor_b64 s[8:9], exec, s[8:9]
; %bb.3:
	v_bfe_u32 v5, v4, 16, 1
	s_movk_i32 s10, 0x7fff
	v_add3_u32 v5, v4, v5, s10
                                        ; implicit-def: $vgpr4
; %bb.4:
	s_andn2_saveexec_b64 s[8:9], s[8:9]
; %bb.5:
	v_mov_b32_e32 v5, 0
	v_or_b32_e32 v6, 0x10000, v4
	v_cmp_eq_u32_sdwa vcc, v4, v5 src0_sel:WORD_0 src1_sel:DWORD
	v_cndmask_b32_e32 v5, v6, v4, vcc
; %bb.6:
	s_or_b64 exec, exec, s[8:9]
	v_and_b32_e32 v4, 0xffff0000, v5
	v_sub_f32_e32 v4, v4, v1
	s_mov_b32 s8, 0x7f800000
	v_and_b32_e32 v5, 0x7f800000, v4
	v_cmp_ne_u32_e32 vcc, s8, v5
                                        ; implicit-def: $vgpr5
	s_and_saveexec_b64 s[8:9], vcc
	s_xor_b64 s[8:9], exec, s[8:9]
; %bb.7:
	v_bfe_u32 v5, v4, 16, 1
	s_movk_i32 s10, 0x7fff
	v_add3_u32 v5, v4, v5, s10
                                        ; implicit-def: $vgpr4
; %bb.8:
	s_andn2_saveexec_b64 s[8:9], s[8:9]
; %bb.9:
	v_mov_b32_e32 v5, 0
	v_or_b32_e32 v6, 0x10000, v4
	v_cmp_eq_u32_sdwa vcc, v4, v5 src0_sel:WORD_0 src1_sel:DWORD
	v_cndmask_b32_e32 v5, v6, v4, vcc
; %bb.10:
	s_or_b64 exec, exec, s[8:9]
	v_and_b32_e32 v4, 0xffff0000, v5
.LBB121_11:
	s_or_b64 exec, exec, s[6:7]
	s_cbranch_execz .LBB121_13
	s_branch .LBB121_24
.LBB121_12:
                                        ; implicit-def: $vgpr4
.LBB121_13:
	v_mov_b32_e32 v4, 0
	global_load_ushort v4, v4, s[0:1] offset:512
	s_movk_i32 s0, 0xff
	v_cmp_ne_u32_e32 vcc, s0, v0
	ds_write_b16 v2, v3 offset:512
	s_waitcnt lgkmcnt(0)
	s_barrier
	s_and_saveexec_b64 s[0:1], vcc
	s_cbranch_execz .LBB121_15
; %bb.14:
	s_waitcnt vmcnt(0)
	ds_read_u16 v4, v2 offset:514
.LBB121_15:
	s_or_b64 exec, exec, s[0:1]
	s_waitcnt vmcnt(0) lgkmcnt(0)
	v_lshlrev_b32_e32 v2, 16, v4
	v_add_f32_e32 v2, v2, v2
	s_mov_b32 s0, 0x7f800000
	v_and_b32_e32 v3, 0x7f800000, v2
	v_cmp_ne_u32_e32 vcc, s0, v3
                                        ; implicit-def: $vgpr3
	s_and_saveexec_b64 s[0:1], vcc
	s_xor_b64 s[0:1], exec, s[0:1]
; %bb.16:
	v_bfe_u32 v3, v2, 16, 1
	s_movk_i32 s6, 0x7fff
	v_add3_u32 v3, v2, v3, s6
                                        ; implicit-def: $vgpr2
; %bb.17:
	s_andn2_saveexec_b64 s[0:1], s[0:1]
; %bb.18:
	v_mov_b32_e32 v3, 0
	v_or_b32_e32 v4, 0x10000, v2
	v_cmp_eq_u32_sdwa vcc, v2, v3 src0_sel:WORD_0 src1_sel:DWORD
	v_cndmask_b32_e32 v3, v4, v2, vcc
; %bb.19:
	s_or_b64 exec, exec, s[0:1]
	v_and_b32_e32 v2, 0xffff0000, v3
	v_sub_f32_e32 v1, v2, v1
	s_mov_b32 s0, 0x7f800000
	v_and_b32_e32 v2, 0x7f800000, v1
	v_cmp_ne_u32_e32 vcc, s0, v2
                                        ; implicit-def: $vgpr2
	s_and_saveexec_b64 s[0:1], vcc
	s_xor_b64 s[0:1], exec, s[0:1]
; %bb.20:
	v_bfe_u32 v2, v1, 16, 1
	s_movk_i32 s6, 0x7fff
	v_add3_u32 v2, v1, v2, s6
                                        ; implicit-def: $vgpr1
; %bb.21:
	s_andn2_saveexec_b64 s[0:1], s[0:1]
; %bb.22:
	v_mov_b32_e32 v2, 0
	v_or_b32_e32 v3, 0x10000, v1
	v_cmp_eq_u32_sdwa vcc, v1, v2 src0_sel:WORD_0 src1_sel:DWORD
	v_cndmask_b32_e32 v2, v3, v1, vcc
; %bb.23:
	s_or_b64 exec, exec, s[0:1]
	v_and_b32_e32 v4, 0xffff0000, v2
.LBB121_24:
	v_cvt_i32_f32_e32 v1, v4
	s_lshl_b64 s[0:1], s[4:5], 2
	s_add_u32 s0, s2, s0
	s_addc_u32 s1, s3, s1
	v_lshlrev_b32_e32 v0, 2, v0
	global_store_dword v0, v1, s[0:1]
	s_endpgm
	.section	.rodata,"a",@progbits
	.p2align	6, 0x0
	.amdhsa_kernel _Z21subtract_right_kernelI12hip_bfloat16ii10custom_op2Lj256ELj1EEvPKT_PT1_
		.amdhsa_group_segment_fixed_size 1024
		.amdhsa_private_segment_fixed_size 0
		.amdhsa_kernarg_size 16
		.amdhsa_user_sgpr_count 6
		.amdhsa_user_sgpr_private_segment_buffer 1
		.amdhsa_user_sgpr_dispatch_ptr 0
		.amdhsa_user_sgpr_queue_ptr 0
		.amdhsa_user_sgpr_kernarg_segment_ptr 1
		.amdhsa_user_sgpr_dispatch_id 0
		.amdhsa_user_sgpr_flat_scratch_init 0
		.amdhsa_user_sgpr_kernarg_preload_length 0
		.amdhsa_user_sgpr_kernarg_preload_offset 0
		.amdhsa_user_sgpr_private_segment_size 0
		.amdhsa_uses_dynamic_stack 0
		.amdhsa_system_sgpr_private_segment_wavefront_offset 0
		.amdhsa_system_sgpr_workgroup_id_x 1
		.amdhsa_system_sgpr_workgroup_id_y 0
		.amdhsa_system_sgpr_workgroup_id_z 0
		.amdhsa_system_sgpr_workgroup_info 0
		.amdhsa_system_vgpr_workitem_id 0
		.amdhsa_next_free_vgpr 7
		.amdhsa_next_free_sgpr 11
		.amdhsa_accum_offset 8
		.amdhsa_reserve_vcc 1
		.amdhsa_reserve_flat_scratch 0
		.amdhsa_float_round_mode_32 0
		.amdhsa_float_round_mode_16_64 0
		.amdhsa_float_denorm_mode_32 3
		.amdhsa_float_denorm_mode_16_64 3
		.amdhsa_dx10_clamp 1
		.amdhsa_ieee_mode 1
		.amdhsa_fp16_overflow 0
		.amdhsa_tg_split 0
		.amdhsa_exception_fp_ieee_invalid_op 0
		.amdhsa_exception_fp_denorm_src 0
		.amdhsa_exception_fp_ieee_div_zero 0
		.amdhsa_exception_fp_ieee_overflow 0
		.amdhsa_exception_fp_ieee_underflow 0
		.amdhsa_exception_fp_ieee_inexact 0
		.amdhsa_exception_int_div_zero 0
	.end_amdhsa_kernel
	.section	.text._Z21subtract_right_kernelI12hip_bfloat16ii10custom_op2Lj256ELj1EEvPKT_PT1_,"axG",@progbits,_Z21subtract_right_kernelI12hip_bfloat16ii10custom_op2Lj256ELj1EEvPKT_PT1_,comdat
.Lfunc_end121:
	.size	_Z21subtract_right_kernelI12hip_bfloat16ii10custom_op2Lj256ELj1EEvPKT_PT1_, .Lfunc_end121-_Z21subtract_right_kernelI12hip_bfloat16ii10custom_op2Lj256ELj1EEvPKT_PT1_
                                        ; -- End function
	.section	.AMDGPU.csdata,"",@progbits
; Kernel info:
; codeLenInByte = 600
; NumSgprs: 15
; NumVgprs: 7
; NumAgprs: 0
; TotalNumVgprs: 7
; ScratchSize: 0
; MemoryBound: 0
; FloatMode: 240
; IeeeMode: 1
; LDSByteSize: 1024 bytes/workgroup (compile time only)
; SGPRBlocks: 1
; VGPRBlocks: 0
; NumSGPRsForWavesPerEU: 15
; NumVGPRsForWavesPerEU: 7
; AccumOffset: 8
; Occupancy: 8
; WaveLimiterHint : 0
; COMPUTE_PGM_RSRC2:SCRATCH_EN: 0
; COMPUTE_PGM_RSRC2:USER_SGPR: 6
; COMPUTE_PGM_RSRC2:TRAP_HANDLER: 0
; COMPUTE_PGM_RSRC2:TGID_X_EN: 1
; COMPUTE_PGM_RSRC2:TGID_Y_EN: 0
; COMPUTE_PGM_RSRC2:TGID_Z_EN: 0
; COMPUTE_PGM_RSRC2:TIDIG_COMP_CNT: 0
; COMPUTE_PGM_RSRC3_GFX90A:ACCUM_OFFSET: 1
; COMPUTE_PGM_RSRC3_GFX90A:TG_SPLIT: 0
	.section	.text._Z21subtract_right_kernelI6__halfii10custom_op1Lj256ELj1EEvPKT_PT1_,"axG",@progbits,_Z21subtract_right_kernelI6__halfii10custom_op1Lj256ELj1EEvPKT_PT1_,comdat
	.protected	_Z21subtract_right_kernelI6__halfii10custom_op1Lj256ELj1EEvPKT_PT1_ ; -- Begin function _Z21subtract_right_kernelI6__halfii10custom_op1Lj256ELj1EEvPKT_PT1_
	.globl	_Z21subtract_right_kernelI6__halfii10custom_op1Lj256ELj1EEvPKT_PT1_
	.p2align	8
	.type	_Z21subtract_right_kernelI6__halfii10custom_op1Lj256ELj1EEvPKT_PT1_,@function
_Z21subtract_right_kernelI6__halfii10custom_op1Lj256ELj1EEvPKT_PT1_: ; @_Z21subtract_right_kernelI6__halfii10custom_op1Lj256ELj1EEvPKT_PT1_
; %bb.0:
	s_load_dwordx4 s[0:3], s[4:5], 0x0
	s_lshl_b32 s4, s6, 8
	s_mov_b32 s5, 0
	s_lshl_b64 s[8:9], s[4:5], 1
	v_lshlrev_b32_e32 v2, 1, v0
	s_waitcnt lgkmcnt(0)
	s_add_u32 s0, s0, s8
	s_addc_u32 s1, s1, s9
	global_load_ushort v1, v2, s[0:1]
	s_bitcmp1_b32 s6, 0
	s_cselect_b64 s[6:7], -1, 0
	s_and_b64 vcc, exec, s[6:7]
	s_cbranch_vccz .LBB122_4
; %bb.1:
	s_movk_i32 s6, 0xff
	v_cmp_ne_u32_e32 vcc, s6, v0
	s_waitcnt vmcnt(0)
	v_mov_b32_e32 v3, v1
	ds_write_b16 v2, v1 offset:512
	s_waitcnt lgkmcnt(0)
	s_barrier
	s_and_saveexec_b64 s[6:7], vcc
	s_cbranch_execz .LBB122_3
; %bb.2:
	ds_read_u16 v3, v2 offset:514
	s_waitcnt lgkmcnt(0)
	v_sub_f16_e32 v3, v1, v3
.LBB122_3:
	s_or_b64 exec, exec, s[6:7]
	s_cbranch_execz .LBB122_5
	s_branch .LBB122_8
.LBB122_4:
                                        ; implicit-def: $vgpr3
.LBB122_5:
	v_mov_b32_e32 v3, 0
	global_load_ushort v3, v3, s[0:1] offset:512
	s_movk_i32 s0, 0xff
	v_cmp_ne_u32_e32 vcc, s0, v0
	s_waitcnt vmcnt(1)
	ds_write_b16 v2, v1 offset:512
	s_waitcnt lgkmcnt(0)
	s_barrier
	s_and_saveexec_b64 s[0:1], vcc
	s_cbranch_execz .LBB122_7
; %bb.6:
	s_waitcnt vmcnt(0)
	ds_read_u16 v3, v2 offset:514
.LBB122_7:
	s_or_b64 exec, exec, s[0:1]
	s_waitcnt vmcnt(0) lgkmcnt(0)
	v_sub_f16_e32 v3, v1, v3
.LBB122_8:
	s_waitcnt vmcnt(0)
	v_cvt_f32_f16_e32 v1, v3
	s_lshl_b64 s[0:1], s[4:5], 2
	s_add_u32 s0, s2, s0
	s_addc_u32 s1, s3, s1
	v_cvt_i32_f32_e32 v1, v1
	v_lshlrev_b32_e32 v0, 2, v0
	global_store_dword v0, v1, s[0:1]
	s_endpgm
	.section	.rodata,"a",@progbits
	.p2align	6, 0x0
	.amdhsa_kernel _Z21subtract_right_kernelI6__halfii10custom_op1Lj256ELj1EEvPKT_PT1_
		.amdhsa_group_segment_fixed_size 1024
		.amdhsa_private_segment_fixed_size 0
		.amdhsa_kernarg_size 16
		.amdhsa_user_sgpr_count 6
		.amdhsa_user_sgpr_private_segment_buffer 1
		.amdhsa_user_sgpr_dispatch_ptr 0
		.amdhsa_user_sgpr_queue_ptr 0
		.amdhsa_user_sgpr_kernarg_segment_ptr 1
		.amdhsa_user_sgpr_dispatch_id 0
		.amdhsa_user_sgpr_flat_scratch_init 0
		.amdhsa_user_sgpr_kernarg_preload_length 0
		.amdhsa_user_sgpr_kernarg_preload_offset 0
		.amdhsa_user_sgpr_private_segment_size 0
		.amdhsa_uses_dynamic_stack 0
		.amdhsa_system_sgpr_private_segment_wavefront_offset 0
		.amdhsa_system_sgpr_workgroup_id_x 1
		.amdhsa_system_sgpr_workgroup_id_y 0
		.amdhsa_system_sgpr_workgroup_id_z 0
		.amdhsa_system_sgpr_workgroup_info 0
		.amdhsa_system_vgpr_workitem_id 0
		.amdhsa_next_free_vgpr 4
		.amdhsa_next_free_sgpr 10
		.amdhsa_accum_offset 4
		.amdhsa_reserve_vcc 1
		.amdhsa_reserve_flat_scratch 0
		.amdhsa_float_round_mode_32 0
		.amdhsa_float_round_mode_16_64 0
		.amdhsa_float_denorm_mode_32 3
		.amdhsa_float_denorm_mode_16_64 3
		.amdhsa_dx10_clamp 1
		.amdhsa_ieee_mode 1
		.amdhsa_fp16_overflow 0
		.amdhsa_tg_split 0
		.amdhsa_exception_fp_ieee_invalid_op 0
		.amdhsa_exception_fp_denorm_src 0
		.amdhsa_exception_fp_ieee_div_zero 0
		.amdhsa_exception_fp_ieee_overflow 0
		.amdhsa_exception_fp_ieee_underflow 0
		.amdhsa_exception_fp_ieee_inexact 0
		.amdhsa_exception_int_div_zero 0
	.end_amdhsa_kernel
	.section	.text._Z21subtract_right_kernelI6__halfii10custom_op1Lj256ELj1EEvPKT_PT1_,"axG",@progbits,_Z21subtract_right_kernelI6__halfii10custom_op1Lj256ELj1EEvPKT_PT1_,comdat
.Lfunc_end122:
	.size	_Z21subtract_right_kernelI6__halfii10custom_op1Lj256ELj1EEvPKT_PT1_, .Lfunc_end122-_Z21subtract_right_kernelI6__halfii10custom_op1Lj256ELj1EEvPKT_PT1_
                                        ; -- End function
	.section	.AMDGPU.csdata,"",@progbits
; Kernel info:
; codeLenInByte = 240
; NumSgprs: 14
; NumVgprs: 4
; NumAgprs: 0
; TotalNumVgprs: 4
; ScratchSize: 0
; MemoryBound: 0
; FloatMode: 240
; IeeeMode: 1
; LDSByteSize: 1024 bytes/workgroup (compile time only)
; SGPRBlocks: 1
; VGPRBlocks: 0
; NumSGPRsForWavesPerEU: 14
; NumVGPRsForWavesPerEU: 4
; AccumOffset: 4
; Occupancy: 8
; WaveLimiterHint : 0
; COMPUTE_PGM_RSRC2:SCRATCH_EN: 0
; COMPUTE_PGM_RSRC2:USER_SGPR: 6
; COMPUTE_PGM_RSRC2:TRAP_HANDLER: 0
; COMPUTE_PGM_RSRC2:TGID_X_EN: 1
; COMPUTE_PGM_RSRC2:TGID_Y_EN: 0
; COMPUTE_PGM_RSRC2:TGID_Z_EN: 0
; COMPUTE_PGM_RSRC2:TIDIG_COMP_CNT: 0
; COMPUTE_PGM_RSRC3_GFX90A:ACCUM_OFFSET: 0
; COMPUTE_PGM_RSRC3_GFX90A:TG_SPLIT: 0
	.section	.text._Z21subtract_right_kernelIfii10custom_op2Lj256ELj1EEvPKT_PT1_,"axG",@progbits,_Z21subtract_right_kernelIfii10custom_op2Lj256ELj1EEvPKT_PT1_,comdat
	.protected	_Z21subtract_right_kernelIfii10custom_op2Lj256ELj1EEvPKT_PT1_ ; -- Begin function _Z21subtract_right_kernelIfii10custom_op2Lj256ELj1EEvPKT_PT1_
	.globl	_Z21subtract_right_kernelIfii10custom_op2Lj256ELj1EEvPKT_PT1_
	.p2align	8
	.type	_Z21subtract_right_kernelIfii10custom_op2Lj256ELj1EEvPKT_PT1_,@function
_Z21subtract_right_kernelIfii10custom_op2Lj256ELj1EEvPKT_PT1_: ; @_Z21subtract_right_kernelIfii10custom_op2Lj256ELj1EEvPKT_PT1_
; %bb.0:
	s_load_dwordx4 s[0:3], s[4:5], 0x0
	s_lshl_b32 s4, s6, 8
	s_mov_b32 s5, 0
	s_lshl_b64 s[4:5], s[4:5], 2
	v_lshlrev_b32_e32 v1, 2, v0
	s_waitcnt lgkmcnt(0)
	s_add_u32 s0, s0, s4
	s_addc_u32 s1, s1, s5
	global_load_dword v2, v1, s[0:1]
	s_bitcmp1_b32 s6, 0
	s_cselect_b64 s[6:7], -1, 0
	s_and_b64 vcc, exec, s[6:7]
	s_cbranch_vccz .LBB123_4
; %bb.1:
	s_movk_i32 s6, 0xff
	v_cmp_ne_u32_e32 vcc, s6, v0
	s_waitcnt vmcnt(0)
	v_mov_b32_e32 v3, v2
	ds_write_b32 v1, v2 offset:1024
	s_waitcnt lgkmcnt(0)
	s_barrier
	s_and_saveexec_b64 s[6:7], vcc
	s_cbranch_execz .LBB123_3
; %bb.2:
	ds_read_b32 v3, v1 offset:1028
	s_waitcnt lgkmcnt(0)
	v_fma_f32 v3, v3, 2.0, -v2
.LBB123_3:
	s_or_b64 exec, exec, s[6:7]
	s_cbranch_execz .LBB123_5
	s_branch .LBB123_8
.LBB123_4:
                                        ; implicit-def: $vgpr3
.LBB123_5:
	s_load_dword s0, s[0:1], 0x400
	s_movk_i32 s1, 0xff
	v_cmp_ne_u32_e32 vcc, s1, v0
	s_waitcnt vmcnt(0)
	ds_write_b32 v1, v2 offset:1024
	s_waitcnt lgkmcnt(0)
	v_mov_b32_e32 v0, s0
	s_barrier
	s_and_saveexec_b64 s[0:1], vcc
	s_cbranch_execz .LBB123_7
; %bb.6:
	ds_read_b32 v0, v1 offset:1028
.LBB123_7:
	s_or_b64 exec, exec, s[0:1]
	s_waitcnt lgkmcnt(0)
	v_fma_f32 v3, v0, 2.0, -v2
.LBB123_8:
	v_cvt_i32_f32_e32 v0, v3
	s_add_u32 s0, s2, s4
	s_addc_u32 s1, s3, s5
	global_store_dword v1, v0, s[0:1]
	s_endpgm
	.section	.rodata,"a",@progbits
	.p2align	6, 0x0
	.amdhsa_kernel _Z21subtract_right_kernelIfii10custom_op2Lj256ELj1EEvPKT_PT1_
		.amdhsa_group_segment_fixed_size 2048
		.amdhsa_private_segment_fixed_size 0
		.amdhsa_kernarg_size 16
		.amdhsa_user_sgpr_count 6
		.amdhsa_user_sgpr_private_segment_buffer 1
		.amdhsa_user_sgpr_dispatch_ptr 0
		.amdhsa_user_sgpr_queue_ptr 0
		.amdhsa_user_sgpr_kernarg_segment_ptr 1
		.amdhsa_user_sgpr_dispatch_id 0
		.amdhsa_user_sgpr_flat_scratch_init 0
		.amdhsa_user_sgpr_kernarg_preload_length 0
		.amdhsa_user_sgpr_kernarg_preload_offset 0
		.amdhsa_user_sgpr_private_segment_size 0
		.amdhsa_uses_dynamic_stack 0
		.amdhsa_system_sgpr_private_segment_wavefront_offset 0
		.amdhsa_system_sgpr_workgroup_id_x 1
		.amdhsa_system_sgpr_workgroup_id_y 0
		.amdhsa_system_sgpr_workgroup_id_z 0
		.amdhsa_system_sgpr_workgroup_info 0
		.amdhsa_system_vgpr_workitem_id 0
		.amdhsa_next_free_vgpr 4
		.amdhsa_next_free_sgpr 8
		.amdhsa_accum_offset 4
		.amdhsa_reserve_vcc 1
		.amdhsa_reserve_flat_scratch 0
		.amdhsa_float_round_mode_32 0
		.amdhsa_float_round_mode_16_64 0
		.amdhsa_float_denorm_mode_32 3
		.amdhsa_float_denorm_mode_16_64 3
		.amdhsa_dx10_clamp 1
		.amdhsa_ieee_mode 1
		.amdhsa_fp16_overflow 0
		.amdhsa_tg_split 0
		.amdhsa_exception_fp_ieee_invalid_op 0
		.amdhsa_exception_fp_denorm_src 0
		.amdhsa_exception_fp_ieee_div_zero 0
		.amdhsa_exception_fp_ieee_overflow 0
		.amdhsa_exception_fp_ieee_underflow 0
		.amdhsa_exception_fp_ieee_inexact 0
		.amdhsa_exception_int_div_zero 0
	.end_amdhsa_kernel
	.section	.text._Z21subtract_right_kernelIfii10custom_op2Lj256ELj1EEvPKT_PT1_,"axG",@progbits,_Z21subtract_right_kernelIfii10custom_op2Lj256ELj1EEvPKT_PT1_,comdat
.Lfunc_end123:
	.size	_Z21subtract_right_kernelIfii10custom_op2Lj256ELj1EEvPKT_PT1_, .Lfunc_end123-_Z21subtract_right_kernelIfii10custom_op2Lj256ELj1EEvPKT_PT1_
                                        ; -- End function
	.section	.AMDGPU.csdata,"",@progbits
; Kernel info:
; codeLenInByte = 228
; NumSgprs: 12
; NumVgprs: 4
; NumAgprs: 0
; TotalNumVgprs: 4
; ScratchSize: 0
; MemoryBound: 0
; FloatMode: 240
; IeeeMode: 1
; LDSByteSize: 2048 bytes/workgroup (compile time only)
; SGPRBlocks: 1
; VGPRBlocks: 0
; NumSGPRsForWavesPerEU: 12
; NumVGPRsForWavesPerEU: 4
; AccumOffset: 4
; Occupancy: 8
; WaveLimiterHint : 0
; COMPUTE_PGM_RSRC2:SCRATCH_EN: 0
; COMPUTE_PGM_RSRC2:USER_SGPR: 6
; COMPUTE_PGM_RSRC2:TRAP_HANDLER: 0
; COMPUTE_PGM_RSRC2:TGID_X_EN: 1
; COMPUTE_PGM_RSRC2:TGID_Y_EN: 0
; COMPUTE_PGM_RSRC2:TGID_Z_EN: 0
; COMPUTE_PGM_RSRC2:TIDIG_COMP_CNT: 0
; COMPUTE_PGM_RSRC3_GFX90A:ACCUM_OFFSET: 0
; COMPUTE_PGM_RSRC3_GFX90A:TG_SPLIT: 0
	.section	.text._Z21subtract_right_kernelIibi10custom_op1Lj128ELj1EEvPKT_PT1_,"axG",@progbits,_Z21subtract_right_kernelIibi10custom_op1Lj128ELj1EEvPKT_PT1_,comdat
	.protected	_Z21subtract_right_kernelIibi10custom_op1Lj128ELj1EEvPKT_PT1_ ; -- Begin function _Z21subtract_right_kernelIibi10custom_op1Lj128ELj1EEvPKT_PT1_
	.globl	_Z21subtract_right_kernelIibi10custom_op1Lj128ELj1EEvPKT_PT1_
	.p2align	8
	.type	_Z21subtract_right_kernelIibi10custom_op1Lj128ELj1EEvPKT_PT1_,@function
_Z21subtract_right_kernelIibi10custom_op1Lj128ELj1EEvPKT_PT1_: ; @_Z21subtract_right_kernelIibi10custom_op1Lj128ELj1EEvPKT_PT1_
; %bb.0:
	s_load_dwordx4 s[0:3], s[4:5], 0x0
	s_lshl_b32 s8, s6, 7
	s_mov_b32 s9, 0
	s_lshl_b64 s[4:5], s[8:9], 2
	v_lshlrev_b32_e32 v1, 2, v0
	s_waitcnt lgkmcnt(0)
	s_add_u32 s10, s0, s4
	s_addc_u32 s11, s1, s5
	global_load_dword v2, v1, s[10:11]
	s_bitcmp1_b32 s6, 0
	s_cselect_b64 s[0:1], -1, 0
	s_and_b64 vcc, exec, s[0:1]
	s_cbranch_vccz .LBB124_2
; %bb.1:
	s_movk_i32 s0, 0x7f
	v_cmp_ne_u32_e32 vcc, s0, v0
	s_waitcnt vmcnt(0)
	ds_write_b32 v1, v2 offset:512
	s_waitcnt lgkmcnt(0)
	s_barrier
	s_and_b64 s[0:1], vcc, exec
	s_cbranch_execz .LBB124_3
	s_branch .LBB124_4
.LBB124_2:
	s_mov_b64 s[0:1], 0
                                        ; implicit-def: $sgpr9
.LBB124_3:
	s_load_dword s9, s[10:11], 0x200
	s_movk_i32 s6, 0x7f
	v_cmp_ne_u32_e32 vcc, s6, v0
	s_andn2_b64 s[0:1], s[0:1], exec
	s_and_b64 s[6:7], vcc, exec
	s_or_b64 s[0:1], s[0:1], s[6:7]
	s_waitcnt vmcnt(0)
	ds_write_b32 v1, v2 offset:512
	s_waitcnt lgkmcnt(0)
	s_barrier
.LBB124_4:
	v_mov_b32_e32 v0, s9
	s_and_saveexec_b64 s[6:7], s[0:1]
	s_cbranch_execz .LBB124_6
; %bb.5:
	ds_read_b32 v0, v1 offset:516
.LBB124_6:
	s_or_b64 exec, exec, s[6:7]
	s_add_u32 s0, s2, s4
	s_waitcnt vmcnt(0) lgkmcnt(0)
	v_cmp_ne_u32_e32 vcc, v2, v0
	s_addc_u32 s1, s3, s5
	v_cndmask_b32_e64 v0, 0, 1, vcc
	global_store_dword v1, v0, s[0:1]
	s_endpgm
	.section	.rodata,"a",@progbits
	.p2align	6, 0x0
	.amdhsa_kernel _Z21subtract_right_kernelIibi10custom_op1Lj128ELj1EEvPKT_PT1_
		.amdhsa_group_segment_fixed_size 1024
		.amdhsa_private_segment_fixed_size 0
		.amdhsa_kernarg_size 16
		.amdhsa_user_sgpr_count 6
		.amdhsa_user_sgpr_private_segment_buffer 1
		.amdhsa_user_sgpr_dispatch_ptr 0
		.amdhsa_user_sgpr_queue_ptr 0
		.amdhsa_user_sgpr_kernarg_segment_ptr 1
		.amdhsa_user_sgpr_dispatch_id 0
		.amdhsa_user_sgpr_flat_scratch_init 0
		.amdhsa_user_sgpr_kernarg_preload_length 0
		.amdhsa_user_sgpr_kernarg_preload_offset 0
		.amdhsa_user_sgpr_private_segment_size 0
		.amdhsa_uses_dynamic_stack 0
		.amdhsa_system_sgpr_private_segment_wavefront_offset 0
		.amdhsa_system_sgpr_workgroup_id_x 1
		.amdhsa_system_sgpr_workgroup_id_y 0
		.amdhsa_system_sgpr_workgroup_id_z 0
		.amdhsa_system_sgpr_workgroup_info 0
		.amdhsa_system_vgpr_workitem_id 0
		.amdhsa_next_free_vgpr 3
		.amdhsa_next_free_sgpr 12
		.amdhsa_accum_offset 4
		.amdhsa_reserve_vcc 1
		.amdhsa_reserve_flat_scratch 0
		.amdhsa_float_round_mode_32 0
		.amdhsa_float_round_mode_16_64 0
		.amdhsa_float_denorm_mode_32 3
		.amdhsa_float_denorm_mode_16_64 3
		.amdhsa_dx10_clamp 1
		.amdhsa_ieee_mode 1
		.amdhsa_fp16_overflow 0
		.amdhsa_tg_split 0
		.amdhsa_exception_fp_ieee_invalid_op 0
		.amdhsa_exception_fp_denorm_src 0
		.amdhsa_exception_fp_ieee_div_zero 0
		.amdhsa_exception_fp_ieee_overflow 0
		.amdhsa_exception_fp_ieee_underflow 0
		.amdhsa_exception_fp_ieee_inexact 0
		.amdhsa_exception_int_div_zero 0
	.end_amdhsa_kernel
	.section	.text._Z21subtract_right_kernelIibi10custom_op1Lj128ELj1EEvPKT_PT1_,"axG",@progbits,_Z21subtract_right_kernelIibi10custom_op1Lj128ELj1EEvPKT_PT1_,comdat
.Lfunc_end124:
	.size	_Z21subtract_right_kernelIibi10custom_op1Lj128ELj1EEvPKT_PT1_, .Lfunc_end124-_Z21subtract_right_kernelIibi10custom_op1Lj128ELj1EEvPKT_PT1_
                                        ; -- End function
	.section	.AMDGPU.csdata,"",@progbits
; Kernel info:
; codeLenInByte = 212
; NumSgprs: 16
; NumVgprs: 3
; NumAgprs: 0
; TotalNumVgprs: 3
; ScratchSize: 0
; MemoryBound: 0
; FloatMode: 240
; IeeeMode: 1
; LDSByteSize: 1024 bytes/workgroup (compile time only)
; SGPRBlocks: 1
; VGPRBlocks: 0
; NumSGPRsForWavesPerEU: 16
; NumVGPRsForWavesPerEU: 3
; AccumOffset: 4
; Occupancy: 8
; WaveLimiterHint : 0
; COMPUTE_PGM_RSRC2:SCRATCH_EN: 0
; COMPUTE_PGM_RSRC2:USER_SGPR: 6
; COMPUTE_PGM_RSRC2:TRAP_HANDLER: 0
; COMPUTE_PGM_RSRC2:TGID_X_EN: 1
; COMPUTE_PGM_RSRC2:TGID_Y_EN: 0
; COMPUTE_PGM_RSRC2:TGID_Z_EN: 0
; COMPUTE_PGM_RSRC2:TIDIG_COMP_CNT: 0
; COMPUTE_PGM_RSRC3_GFX90A:ACCUM_OFFSET: 0
; COMPUTE_PGM_RSRC3_GFX90A:TG_SPLIT: 0
	.section	.text._Z21subtract_right_kernelIjiiN6hipcub3SumELj64ELj1EEvPKT_PT1_,"axG",@progbits,_Z21subtract_right_kernelIjiiN6hipcub3SumELj64ELj1EEvPKT_PT1_,comdat
	.protected	_Z21subtract_right_kernelIjiiN6hipcub3SumELj64ELj1EEvPKT_PT1_ ; -- Begin function _Z21subtract_right_kernelIjiiN6hipcub3SumELj64ELj1EEvPKT_PT1_
	.globl	_Z21subtract_right_kernelIjiiN6hipcub3SumELj64ELj1EEvPKT_PT1_
	.p2align	8
	.type	_Z21subtract_right_kernelIjiiN6hipcub3SumELj64ELj1EEvPKT_PT1_,@function
_Z21subtract_right_kernelIjiiN6hipcub3SumELj64ELj1EEvPKT_PT1_: ; @_Z21subtract_right_kernelIjiiN6hipcub3SumELj64ELj1EEvPKT_PT1_
; %bb.0:
	s_load_dwordx4 s[0:3], s[4:5], 0x0
	s_lshl_b32 s4, s6, 6
	s_mov_b32 s5, 0
	s_lshl_b64 s[4:5], s[4:5], 2
	v_lshlrev_b32_e32 v1, 2, v0
	s_waitcnt lgkmcnt(0)
	s_add_u32 s8, s0, s4
	s_addc_u32 s9, s1, s5
	global_load_dword v2, v1, s[8:9]
	s_bitcmp1_b32 s6, 0
	s_cselect_b64 s[0:1], -1, 0
	s_and_b64 vcc, exec, s[0:1]
	v_cmp_ne_u32_e64 s[0:1], 63, v0
	s_cbranch_vccz .LBB125_5
; %bb.1:
	s_waitcnt vmcnt(0)
	v_mov_b32_e32 v3, v2
	ds_write_b32 v1, v2 offset:256
	s_waitcnt lgkmcnt(0)
	; wave barrier
	s_waitcnt lgkmcnt(0)
	s_and_saveexec_b64 s[6:7], s[0:1]
	s_cbranch_execz .LBB125_3
; %bb.2:
	ds_read_b32 v3, v1 offset:260
	s_waitcnt lgkmcnt(0)
	v_add_u32_e32 v3, v3, v2
.LBB125_3:
	s_or_b64 exec, exec, s[6:7]
	s_cbranch_execz .LBB125_6
; %bb.4:
	s_add_u32 s0, s2, s4
	s_addc_u32 s1, s3, s5
	global_store_dword v1, v3, s[0:1]
	s_endpgm
.LBB125_5:
                                        ; implicit-def: $vgpr3
.LBB125_6:
	s_load_dword s0, s[8:9], 0x100
	v_cmp_ne_u32_e32 vcc, 63, v0
	s_waitcnt vmcnt(0)
	ds_write_b32 v1, v2 offset:256
	s_waitcnt lgkmcnt(0)
	; wave barrier
	s_waitcnt lgkmcnt(0)
	v_mov_b32_e32 v0, s0
	s_and_saveexec_b64 s[0:1], vcc
	s_cbranch_execz .LBB125_8
; %bb.7:
	ds_read_b32 v0, v1 offset:260
.LBB125_8:
	s_or_b64 exec, exec, s[0:1]
	s_waitcnt lgkmcnt(0)
	v_add_u32_e32 v3, v0, v2
	s_add_u32 s0, s2, s4
	s_addc_u32 s1, s3, s5
	global_store_dword v1, v3, s[0:1]
	s_endpgm
	.section	.rodata,"a",@progbits
	.p2align	6, 0x0
	.amdhsa_kernel _Z21subtract_right_kernelIjiiN6hipcub3SumELj64ELj1EEvPKT_PT1_
		.amdhsa_group_segment_fixed_size 512
		.amdhsa_private_segment_fixed_size 0
		.amdhsa_kernarg_size 16
		.amdhsa_user_sgpr_count 6
		.amdhsa_user_sgpr_private_segment_buffer 1
		.amdhsa_user_sgpr_dispatch_ptr 0
		.amdhsa_user_sgpr_queue_ptr 0
		.amdhsa_user_sgpr_kernarg_segment_ptr 1
		.amdhsa_user_sgpr_dispatch_id 0
		.amdhsa_user_sgpr_flat_scratch_init 0
		.amdhsa_user_sgpr_kernarg_preload_length 0
		.amdhsa_user_sgpr_kernarg_preload_offset 0
		.amdhsa_user_sgpr_private_segment_size 0
		.amdhsa_uses_dynamic_stack 0
		.amdhsa_system_sgpr_private_segment_wavefront_offset 0
		.amdhsa_system_sgpr_workgroup_id_x 1
		.amdhsa_system_sgpr_workgroup_id_y 0
		.amdhsa_system_sgpr_workgroup_id_z 0
		.amdhsa_system_sgpr_workgroup_info 0
		.amdhsa_system_vgpr_workitem_id 0
		.amdhsa_next_free_vgpr 4
		.amdhsa_next_free_sgpr 10
		.amdhsa_accum_offset 4
		.amdhsa_reserve_vcc 1
		.amdhsa_reserve_flat_scratch 0
		.amdhsa_float_round_mode_32 0
		.amdhsa_float_round_mode_16_64 0
		.amdhsa_float_denorm_mode_32 3
		.amdhsa_float_denorm_mode_16_64 3
		.amdhsa_dx10_clamp 1
		.amdhsa_ieee_mode 1
		.amdhsa_fp16_overflow 0
		.amdhsa_tg_split 0
		.amdhsa_exception_fp_ieee_invalid_op 0
		.amdhsa_exception_fp_denorm_src 0
		.amdhsa_exception_fp_ieee_div_zero 0
		.amdhsa_exception_fp_ieee_overflow 0
		.amdhsa_exception_fp_ieee_underflow 0
		.amdhsa_exception_fp_ieee_inexact 0
		.amdhsa_exception_int_div_zero 0
	.end_amdhsa_kernel
	.section	.text._Z21subtract_right_kernelIjiiN6hipcub3SumELj64ELj1EEvPKT_PT1_,"axG",@progbits,_Z21subtract_right_kernelIjiiN6hipcub3SumELj64ELj1EEvPKT_PT1_,comdat
.Lfunc_end125:
	.size	_Z21subtract_right_kernelIjiiN6hipcub3SumELj64ELj1EEvPKT_PT1_, .Lfunc_end125-_Z21subtract_right_kernelIjiiN6hipcub3SumELj64ELj1EEvPKT_PT1_
                                        ; -- End function
	.section	.AMDGPU.csdata,"",@progbits
; Kernel info:
; codeLenInByte = 228
; NumSgprs: 14
; NumVgprs: 4
; NumAgprs: 0
; TotalNumVgprs: 4
; ScratchSize: 0
; MemoryBound: 0
; FloatMode: 240
; IeeeMode: 1
; LDSByteSize: 512 bytes/workgroup (compile time only)
; SGPRBlocks: 1
; VGPRBlocks: 0
; NumSGPRsForWavesPerEU: 14
; NumVGPRsForWavesPerEU: 4
; AccumOffset: 4
; Occupancy: 8
; WaveLimiterHint : 0
; COMPUTE_PGM_RSRC2:SCRATCH_EN: 0
; COMPUTE_PGM_RSRC2:USER_SGPR: 6
; COMPUTE_PGM_RSRC2:TRAP_HANDLER: 0
; COMPUTE_PGM_RSRC2:TGID_X_EN: 1
; COMPUTE_PGM_RSRC2:TGID_Y_EN: 0
; COMPUTE_PGM_RSRC2:TGID_Z_EN: 0
; COMPUTE_PGM_RSRC2:TIDIG_COMP_CNT: 0
; COMPUTE_PGM_RSRC3_GFX90A:ACCUM_OFFSET: 0
; COMPUTE_PGM_RSRC3_GFX90A:TG_SPLIT: 0
	.section	.text._Z34subtract_right_partial_tile_kernelIsbi10custom_op2Lj234ELj9EEvPKT_PiPT1_,"axG",@progbits,_Z34subtract_right_partial_tile_kernelIsbi10custom_op2Lj234ELj9EEvPKT_PiPT1_,comdat
	.protected	_Z34subtract_right_partial_tile_kernelIsbi10custom_op2Lj234ELj9EEvPKT_PiPT1_ ; -- Begin function _Z34subtract_right_partial_tile_kernelIsbi10custom_op2Lj234ELj9EEvPKT_PiPT1_
	.globl	_Z34subtract_right_partial_tile_kernelIsbi10custom_op2Lj234ELj9EEvPKT_PiPT1_
	.p2align	8
	.type	_Z34subtract_right_partial_tile_kernelIsbi10custom_op2Lj234ELj9EEvPKT_PiPT1_,@function
_Z34subtract_right_partial_tile_kernelIsbi10custom_op2Lj234ELj9EEvPKT_PiPT1_: ; @_Z34subtract_right_partial_tile_kernelIsbi10custom_op2Lj234ELj9EEvPKT_PiPT1_
; %bb.0:
	s_load_dwordx4 s[0:3], s[4:5], 0x0
	s_load_dwordx2 s[8:9], s[4:5], 0x10
	s_mul_i32 s4, s6, 0x83a
	s_mov_b32 s5, 0
	s_lshl_b64 s[10:11], s[4:5], 1
	s_waitcnt lgkmcnt(0)
	s_add_u32 s0, s0, s10
	v_mul_u32_u24_e32 v3, 9, v0
	s_addc_u32 s1, s1, s11
	v_lshlrev_b32_e32 v1, 1, v3
	global_load_dwordx4 v[8:11], v1, s[0:1]
	global_load_ushort v6, v1, s[0:1] offset:16
	s_mov_b32 s7, s5
	s_lshl_b64 s[6:7], s[6:7], 2
	s_add_u32 s0, s2, s6
	v_mov_b32_e32 v2, 1
	v_mov_b32_e32 v4, 0
	s_addc_u32 s1, s3, s7
	s_load_dword s2, s[0:1], 0x0
	v_lshlrev_b32_e32 v5, 1, v0
	v_mad_u32_u24 v7, v0, 9, 1
	v_mad_u32_u24 v13, v0, 9, 3
	;; [unrolled: 1-line block ×6, first 2 shown]
	s_movk_i32 s10, 0x1ff
	s_movk_i32 s12, 0xff00
	;; [unrolled: 1-line block ×3, first 2 shown]
	s_waitcnt vmcnt(1)
	v_cmp_ne_u16_e32 vcc, 0, v8
	v_cndmask_b32_e64 v17, 0, 1, vcc
	v_cmp_ne_u16_e32 vcc, 0, v9
	v_lshlrev_b16_sdwa v1, v2, v8 dst_sel:DWORD dst_unused:UNUSED_PAD src0_sel:DWORD src1_sel:WORD_1
	v_cmp_ne_u16_sdwa s[0:1], v8, v4 src0_sel:WORD_1 src1_sel:DWORD
	v_cndmask_b32_e64 v20, 0, 1, vcc
	v_cmp_ne_u16_e32 vcc, 0, v10
	v_cndmask_b32_e64 v18, 0, 1, s[0:1]
	v_lshlrev_b16_sdwa v21, v2, v9 dst_sel:DWORD dst_unused:UNUSED_PAD src0_sel:DWORD src1_sel:WORD_1
	v_cmp_ne_u16_sdwa s[0:1], v9, v4 src0_sel:WORD_1 src1_sel:DWORD
	v_cndmask_b32_e64 v24, 0, 1, vcc
	v_cmp_ne_u16_e32 vcc, v1, v8
	v_lshlrev_b16_e32 v19, 1, v9
	v_cndmask_b32_e64 v22, 0, 1, s[0:1]
	v_lshlrev_b16_sdwa v25, v2, v10 dst_sel:DWORD dst_unused:UNUSED_PAD src0_sel:DWORD src1_sel:WORD_1
	v_cmp_ne_u16_sdwa s[0:1], v10, v4 src0_sel:WORD_1 src1_sel:DWORD
	v_cndmask_b32_e64 v1, 0, 1, vcc
	v_cmp_ne_u16_e32 vcc, v21, v9
	v_cndmask_b32_e64 v26, 0, 1, s[0:1]
	v_lshlrev_b16_sdwa v2, v2, v11 dst_sel:DWORD dst_unused:UNUSED_PAD src0_sel:DWORD src1_sel:WORD_1
	v_cmp_ne_u16_sdwa s[0:1], v19, v8 src0_sel:DWORD src1_sel:WORD_1
	v_cndmask_b32_e64 v19, 0, 1, vcc
	v_cmp_ne_u16_e32 vcc, v25, v10
	v_lshlrev_b16_e32 v23, 1, v10
	v_lshlrev_b16_e32 v21, 8, v22
	v_cndmask_b32_e64 v22, 0, 1, vcc
	v_cmp_ne_u16_e32 vcc, v2, v11
	ds_write_b16 v5, v8 offset:468
	v_lshlrev_b16_e32 v27, 1, v11
	v_cndmask_b32_e64 v8, 0, 1, s[0:1]
	v_cmp_ne_u16_sdwa s[0:1], v23, v9 src0_sel:DWORD src1_sel:WORD_1
	v_cndmask_b32_e64 v2, 0, 1, vcc
	s_waitcnt lgkmcnt(0)
	v_cmp_gt_u32_e32 vcc, s2, v7
	v_cndmask_b32_e64 v9, 0, 1, s[0:1]
	v_cmp_ne_u16_sdwa s[0:1], v27, v10 src0_sel:DWORD src1_sel:WORD_1
	v_cndmask_b32_e32 v1, v17, v1, vcc
	v_cmp_gt_u32_e32 vcc, s2, v13
	v_lshlrev_b16_e32 v18, 8, v18
	v_cndmask_b32_e64 v10, 0, 1, s[0:1]
	v_lshlrev_b16_e32 v7, 8, v8
	v_cndmask_b32_e32 v8, v20, v19, vcc
	v_cmp_gt_u32_e32 vcc, s2, v15
	v_lshlrev_b16_e32 v23, 8, v26
	v_lshlrev_b16_e32 v9, 8, v9
	v_cndmask_b32_e32 v13, v24, v22, vcc
	v_lshlrev_b16_e32 v10, 8, v10
	v_or_b32_e32 v15, v1, v18
	v_or_b32_e32 v1, v1, v7
	v_cmp_gt_u32_e32 vcc, s2, v12
	v_or_b32_e32 v7, v8, v21
	v_or_b32_e32 v8, v8, v9
	v_or_b32_sdwa v9, v13, v23 dst_sel:DWORD dst_unused:UNUSED_PAD src0_sel:BYTE_0 src1_sel:DWORD
	v_or_b32_sdwa v10, v13, v10 dst_sel:DWORD dst_unused:UNUSED_PAD src0_sel:BYTE_0 src1_sel:DWORD
	v_cndmask_b32_e32 v1, v15, v1, vcc
	v_cmp_gt_u32_e32 vcc, s2, v14
	v_cndmask_b32_e32 v7, v7, v8, vcc
	v_and_b32_e32 v8, 0xffff, v9
	v_and_b32_e32 v9, 0xffff, v10
	v_cmp_gt_u32_e32 vcc, s2, v16
	v_lshlrev_b32_e32 v7, 16, v7
	v_cndmask_b32_e32 v8, v8, v9, vcc
	v_cmp_ne_u16_e32 vcc, 0, v11
	v_and_or_b32 v7, v1, s10, v7
	v_and_b32_sdwa v1, v8, s12 dst_sel:DWORD dst_unused:UNUSED_PAD src0_sel:WORD_1 src1_sel:DWORD
	v_cndmask_b32_e64 v9, 0, 1, vcc
	v_or_b32_sdwa v2, v2, v1 dst_sel:WORD_1 dst_unused:UNUSED_PAD src0_sel:DWORD src1_sel:DWORD
	v_or_b32_sdwa v1, v9, v1 dst_sel:WORD_1 dst_unused:UNUSED_PAD src0_sel:DWORD src1_sel:DWORD
	v_mad_u32_u24 v9, v0, 9, 7
	v_cmp_gt_u32_e32 vcc, s2, v9
	v_cmp_ne_u16_sdwa s[0:1], v11, v4 src0_sel:WORD_1 src1_sel:DWORD
	s_waitcnt vmcnt(0)
	v_lshlrev_b16_e32 v9, 1, v6
	v_or_b32_sdwa v1, v8, v1 dst_sel:DWORD dst_unused:UNUSED_PAD src0_sel:WORD_0 src1_sel:DWORD
	v_or_b32_sdwa v2, v8, v2 dst_sel:DWORD dst_unused:UNUSED_PAD src0_sel:WORD_0 src1_sel:DWORD
	v_cndmask_b32_e64 v4, 0, 1, s[0:1]
	v_cmp_ne_u16_sdwa s[0:1], v9, v11 src0_sel:DWORD src1_sel:WORD_1
	v_cndmask_b32_e32 v1, v1, v2, vcc
	v_cndmask_b32_e64 v9, 0, 1, s[0:1]
	v_and_b32_sdwa v2, v1, s11 dst_sel:DWORD dst_unused:UNUSED_PAD src0_sel:WORD_1 src1_sel:DWORD
	v_lshlrev_b16_e32 v4, 8, v4
	v_lshlrev_b16_e32 v9, 8, v9
	v_mad_u32_u24 v8, v0, 9, 8
	v_or_b32_sdwa v4, v2, v4 dst_sel:WORD_1 dst_unused:UNUSED_PAD src0_sel:DWORD src1_sel:DWORD
	v_or_b32_sdwa v2, v2, v9 dst_sel:WORD_1 dst_unused:UNUSED_PAD src0_sel:DWORD src1_sel:DWORD
	v_or_b32_sdwa v4, v1, v4 dst_sel:DWORD dst_unused:UNUSED_PAD src0_sel:WORD_0 src1_sel:DWORD
	v_or_b32_sdwa v1, v1, v2 dst_sel:DWORD dst_unused:UNUSED_PAD src0_sel:WORD_0 src1_sel:DWORD
	v_cmp_gt_u32_e32 vcc, s2, v8
	v_cndmask_b32_e32 v1, v4, v1, vcc
	s_mov_b32 s0, 0x3020104
	v_cmp_ne_u16_e32 vcc, 0, v6
	v_mad_u32_u24 v0, v0, 9, 9
	v_perm_b32 v4, v7, v7, s0
	v_cndmask_b32_e64 v2, 0, 1, vcc
	v_cmp_gt_u32_e32 vcc, s2, v0
	s_barrier
	s_and_saveexec_b64 s[0:1], vcc
	s_cbranch_execz .LBB126_2
; %bb.1:
	ds_read_u16 v0, v5 offset:470
	s_waitcnt lgkmcnt(0)
	v_lshlrev_b16_e32 v0, 1, v0
	v_cmp_ne_u16_e32 vcc, v0, v6
	v_cndmask_b32_e64 v2, 0, 1, vcc
.LBB126_2:
	s_or_b64 exec, exec, s[0:1]
	s_lshl_b64 s[0:1], s[4:5], 2
	s_add_u32 s0, s8, s0
	s_addc_u32 s1, s9, s1
	v_lshlrev_b32_e32 v0, 2, v3
	v_lshrrev_b32_e32 v9, 24, v4
	v_and_b32_e32 v6, 0xff, v4
	v_bfe_u32 v8, v4, 16, 8
	v_bfe_u32 v7, v4, 8, 8
	global_store_dwordx4 v0, v[6:9], s[0:1]
	v_and_b32_e32 v4, 0xff, v1
	v_lshrrev_b32_e32 v7, 24, v1
	v_bfe_u32 v6, v1, 16, 8
	v_bfe_u32 v5, v1, 8, 8
	v_and_b32_e32 v1, 0xff, v2
	global_store_dwordx4 v0, v[4:7], s[0:1] offset:16
	global_store_dword v0, v1, s[0:1] offset:32
	s_endpgm
	.section	.rodata,"a",@progbits
	.p2align	6, 0x0
	.amdhsa_kernel _Z34subtract_right_partial_tile_kernelIsbi10custom_op2Lj234ELj9EEvPKT_PiPT1_
		.amdhsa_group_segment_fixed_size 936
		.amdhsa_private_segment_fixed_size 0
		.amdhsa_kernarg_size 24
		.amdhsa_user_sgpr_count 6
		.amdhsa_user_sgpr_private_segment_buffer 1
		.amdhsa_user_sgpr_dispatch_ptr 0
		.amdhsa_user_sgpr_queue_ptr 0
		.amdhsa_user_sgpr_kernarg_segment_ptr 1
		.amdhsa_user_sgpr_dispatch_id 0
		.amdhsa_user_sgpr_flat_scratch_init 0
		.amdhsa_user_sgpr_kernarg_preload_length 0
		.amdhsa_user_sgpr_kernarg_preload_offset 0
		.amdhsa_user_sgpr_private_segment_size 0
		.amdhsa_uses_dynamic_stack 0
		.amdhsa_system_sgpr_private_segment_wavefront_offset 0
		.amdhsa_system_sgpr_workgroup_id_x 1
		.amdhsa_system_sgpr_workgroup_id_y 0
		.amdhsa_system_sgpr_workgroup_id_z 0
		.amdhsa_system_sgpr_workgroup_info 0
		.amdhsa_system_vgpr_workitem_id 0
		.amdhsa_next_free_vgpr 28
		.amdhsa_next_free_sgpr 13
		.amdhsa_accum_offset 28
		.amdhsa_reserve_vcc 1
		.amdhsa_reserve_flat_scratch 0
		.amdhsa_float_round_mode_32 0
		.amdhsa_float_round_mode_16_64 0
		.amdhsa_float_denorm_mode_32 3
		.amdhsa_float_denorm_mode_16_64 3
		.amdhsa_dx10_clamp 1
		.amdhsa_ieee_mode 1
		.amdhsa_fp16_overflow 0
		.amdhsa_tg_split 0
		.amdhsa_exception_fp_ieee_invalid_op 0
		.amdhsa_exception_fp_denorm_src 0
		.amdhsa_exception_fp_ieee_div_zero 0
		.amdhsa_exception_fp_ieee_overflow 0
		.amdhsa_exception_fp_ieee_underflow 0
		.amdhsa_exception_fp_ieee_inexact 0
		.amdhsa_exception_int_div_zero 0
	.end_amdhsa_kernel
	.section	.text._Z34subtract_right_partial_tile_kernelIsbi10custom_op2Lj234ELj9EEvPKT_PiPT1_,"axG",@progbits,_Z34subtract_right_partial_tile_kernelIsbi10custom_op2Lj234ELj9EEvPKT_PiPT1_,comdat
.Lfunc_end126:
	.size	_Z34subtract_right_partial_tile_kernelIsbi10custom_op2Lj234ELj9EEvPKT_PiPT1_, .Lfunc_end126-_Z34subtract_right_partial_tile_kernelIsbi10custom_op2Lj234ELj9EEvPKT_PiPT1_
                                        ; -- End function
	.section	.AMDGPU.csdata,"",@progbits
; Kernel info:
; codeLenInByte = 900
; NumSgprs: 17
; NumVgprs: 28
; NumAgprs: 0
; TotalNumVgprs: 28
; ScratchSize: 0
; MemoryBound: 0
; FloatMode: 240
; IeeeMode: 1
; LDSByteSize: 936 bytes/workgroup (compile time only)
; SGPRBlocks: 2
; VGPRBlocks: 3
; NumSGPRsForWavesPerEU: 17
; NumVGPRsForWavesPerEU: 28
; AccumOffset: 28
; Occupancy: 8
; WaveLimiterHint : 0
; COMPUTE_PGM_RSRC2:SCRATCH_EN: 0
; COMPUTE_PGM_RSRC2:USER_SGPR: 6
; COMPUTE_PGM_RSRC2:TRAP_HANDLER: 0
; COMPUTE_PGM_RSRC2:TGID_X_EN: 1
; COMPUTE_PGM_RSRC2:TGID_Y_EN: 0
; COMPUTE_PGM_RSRC2:TGID_Z_EN: 0
; COMPUTE_PGM_RSRC2:TIDIG_COMP_CNT: 0
; COMPUTE_PGM_RSRC3_GFX90A:ACCUM_OFFSET: 6
; COMPUTE_PGM_RSRC3_GFX90A:TG_SPLIT: 0
	.section	.text._Z34subtract_right_partial_tile_kernelItii10custom_op1Lj100ELj3EEvPKT_PiPT1_,"axG",@progbits,_Z34subtract_right_partial_tile_kernelItii10custom_op1Lj100ELj3EEvPKT_PiPT1_,comdat
	.protected	_Z34subtract_right_partial_tile_kernelItii10custom_op1Lj100ELj3EEvPKT_PiPT1_ ; -- Begin function _Z34subtract_right_partial_tile_kernelItii10custom_op1Lj100ELj3EEvPKT_PiPT1_
	.globl	_Z34subtract_right_partial_tile_kernelItii10custom_op1Lj100ELj3EEvPKT_PiPT1_
	.p2align	8
	.type	_Z34subtract_right_partial_tile_kernelItii10custom_op1Lj100ELj3EEvPKT_PiPT1_,@function
_Z34subtract_right_partial_tile_kernelItii10custom_op1Lj100ELj3EEvPKT_PiPT1_: ; @_Z34subtract_right_partial_tile_kernelItii10custom_op1Lj100ELj3EEvPKT_PiPT1_
; %bb.0:
	s_load_dwordx4 s[0:3], s[4:5], 0x0
	s_load_dwordx2 s[8:9], s[4:5], 0x10
	s_mul_i32 s4, s6, 0x12c
	s_mov_b32 s5, 0
	s_lshl_b64 s[10:11], s[4:5], 1
	s_waitcnt lgkmcnt(0)
	s_add_u32 s0, s0, s10
	v_mul_u32_u24_e32 v3, 3, v0
	s_addc_u32 s1, s1, s11
	v_lshlrev_b32_e32 v1, 1, v3
	global_load_dword v6, v1, s[0:1]
	global_load_ushort v4, v1, s[0:1] offset:4
	s_mov_b32 s7, s5
	s_lshl_b64 s[0:1], s[6:7], 2
	s_add_u32 s0, s2, s0
	s_addc_u32 s1, s3, s1
	s_load_dword s0, s[0:1], 0x0
	v_lshlrev_b32_e32 v5, 1, v0
	v_mad_u32_u24 v1, v0, 3, 1
	v_mad_u32_u24 v7, v0, 3, 2
	;; [unrolled: 1-line block ×3, first 2 shown]
	s_waitcnt lgkmcnt(0)
	v_cmp_gt_u32_e32 vcc, s0, v1
	s_waitcnt vmcnt(1)
	v_lshrrev_b32_e32 v9, 16, v6
	ds_write_b16 v5, v6 offset:200
	v_and_b32_e32 v0, 0xffff, v6
	v_sub_u16_e32 v6, v6, v9
	s_waitcnt vmcnt(0)
	v_sub_u16_e32 v10, v9, v4
	v_cndmask_b32_e32 v0, v0, v6, vcc
	v_cmp_gt_u32_e32 vcc, s0, v7
	v_and_b32_e32 v2, 0xffff, v4
	v_cndmask_b32_e32 v1, v9, v10, vcc
	v_cmp_gt_u32_e32 vcc, s0, v8
	s_waitcnt lgkmcnt(0)
	s_barrier
	s_and_saveexec_b64 s[0:1], vcc
	s_cbranch_execz .LBB127_2
; %bb.1:
	ds_read_u16 v2, v5 offset:202
	s_waitcnt lgkmcnt(0)
	v_sub_u16_e32 v2, v4, v2
.LBB127_2:
	s_or_b64 exec, exec, s[0:1]
	s_lshl_b64 s[0:1], s[4:5], 2
	s_add_u32 s0, s8, s0
	s_addc_u32 s1, s9, s1
	v_lshlrev_b32_e32 v3, 2, v3
	global_store_dwordx3 v3, v[0:2], s[0:1]
	s_endpgm
	.section	.rodata,"a",@progbits
	.p2align	6, 0x0
	.amdhsa_kernel _Z34subtract_right_partial_tile_kernelItii10custom_op1Lj100ELj3EEvPKT_PiPT1_
		.amdhsa_group_segment_fixed_size 400
		.amdhsa_private_segment_fixed_size 0
		.amdhsa_kernarg_size 24
		.amdhsa_user_sgpr_count 6
		.amdhsa_user_sgpr_private_segment_buffer 1
		.amdhsa_user_sgpr_dispatch_ptr 0
		.amdhsa_user_sgpr_queue_ptr 0
		.amdhsa_user_sgpr_kernarg_segment_ptr 1
		.amdhsa_user_sgpr_dispatch_id 0
		.amdhsa_user_sgpr_flat_scratch_init 0
		.amdhsa_user_sgpr_kernarg_preload_length 0
		.amdhsa_user_sgpr_kernarg_preload_offset 0
		.amdhsa_user_sgpr_private_segment_size 0
		.amdhsa_uses_dynamic_stack 0
		.amdhsa_system_sgpr_private_segment_wavefront_offset 0
		.amdhsa_system_sgpr_workgroup_id_x 1
		.amdhsa_system_sgpr_workgroup_id_y 0
		.amdhsa_system_sgpr_workgroup_id_z 0
		.amdhsa_system_sgpr_workgroup_info 0
		.amdhsa_system_vgpr_workitem_id 0
		.amdhsa_next_free_vgpr 11
		.amdhsa_next_free_sgpr 12
		.amdhsa_accum_offset 12
		.amdhsa_reserve_vcc 1
		.amdhsa_reserve_flat_scratch 0
		.amdhsa_float_round_mode_32 0
		.amdhsa_float_round_mode_16_64 0
		.amdhsa_float_denorm_mode_32 3
		.amdhsa_float_denorm_mode_16_64 3
		.amdhsa_dx10_clamp 1
		.amdhsa_ieee_mode 1
		.amdhsa_fp16_overflow 0
		.amdhsa_tg_split 0
		.amdhsa_exception_fp_ieee_invalid_op 0
		.amdhsa_exception_fp_denorm_src 0
		.amdhsa_exception_fp_ieee_div_zero 0
		.amdhsa_exception_fp_ieee_overflow 0
		.amdhsa_exception_fp_ieee_underflow 0
		.amdhsa_exception_fp_ieee_inexact 0
		.amdhsa_exception_int_div_zero 0
	.end_amdhsa_kernel
	.section	.text._Z34subtract_right_partial_tile_kernelItii10custom_op1Lj100ELj3EEvPKT_PiPT1_,"axG",@progbits,_Z34subtract_right_partial_tile_kernelItii10custom_op1Lj100ELj3EEvPKT_PiPT1_,comdat
.Lfunc_end127:
	.size	_Z34subtract_right_partial_tile_kernelItii10custom_op1Lj100ELj3EEvPKT_PiPT1_, .Lfunc_end127-_Z34subtract_right_partial_tile_kernelItii10custom_op1Lj100ELj3EEvPKT_PiPT1_
                                        ; -- End function
	.section	.AMDGPU.csdata,"",@progbits
; Kernel info:
; codeLenInByte = 252
; NumSgprs: 16
; NumVgprs: 11
; NumAgprs: 0
; TotalNumVgprs: 11
; ScratchSize: 0
; MemoryBound: 0
; FloatMode: 240
; IeeeMode: 1
; LDSByteSize: 400 bytes/workgroup (compile time only)
; SGPRBlocks: 1
; VGPRBlocks: 1
; NumSGPRsForWavesPerEU: 16
; NumVGPRsForWavesPerEU: 11
; AccumOffset: 12
; Occupancy: 8
; WaveLimiterHint : 0
; COMPUTE_PGM_RSRC2:SCRATCH_EN: 0
; COMPUTE_PGM_RSRC2:USER_SGPR: 6
; COMPUTE_PGM_RSRC2:TRAP_HANDLER: 0
; COMPUTE_PGM_RSRC2:TGID_X_EN: 1
; COMPUTE_PGM_RSRC2:TGID_Y_EN: 0
; COMPUTE_PGM_RSRC2:TGID_Z_EN: 0
; COMPUTE_PGM_RSRC2:TIDIG_COMP_CNT: 0
; COMPUTE_PGM_RSRC3_GFX90A:ACCUM_OFFSET: 2
; COMPUTE_PGM_RSRC3_GFX90A:TG_SPLIT: 0
	.section	.text._Z34subtract_right_partial_tile_kernelIdjjN6hipcub3SumELj464ELj2EEvPKT_PiPT1_,"axG",@progbits,_Z34subtract_right_partial_tile_kernelIdjjN6hipcub3SumELj464ELj2EEvPKT_PiPT1_,comdat
	.protected	_Z34subtract_right_partial_tile_kernelIdjjN6hipcub3SumELj464ELj2EEvPKT_PiPT1_ ; -- Begin function _Z34subtract_right_partial_tile_kernelIdjjN6hipcub3SumELj464ELj2EEvPKT_PiPT1_
	.globl	_Z34subtract_right_partial_tile_kernelIdjjN6hipcub3SumELj464ELj2EEvPKT_PiPT1_
	.p2align	8
	.type	_Z34subtract_right_partial_tile_kernelIdjjN6hipcub3SumELj464ELj2EEvPKT_PiPT1_,@function
_Z34subtract_right_partial_tile_kernelIdjjN6hipcub3SumELj464ELj2EEvPKT_PiPT1_: ; @_Z34subtract_right_partial_tile_kernelIdjjN6hipcub3SumELj464ELj2EEvPKT_PiPT1_
; %bb.0:
	s_load_dwordx4 s[0:3], s[4:5], 0x0
	s_load_dwordx2 s[8:9], s[4:5], 0x10
	s_mul_i32 s4, s6, 0x3a0
	s_mov_b32 s5, 0
	s_lshl_b64 s[10:11], s[4:5], 3
	s_waitcnt lgkmcnt(0)
	s_add_u32 s0, s0, s10
	s_addc_u32 s1, s1, s11
	v_lshlrev_b32_e32 v1, 4, v0
	global_load_dwordx4 v[2:5], v1, s[0:1]
	s_mov_b32 s7, s5
	s_lshl_b64 s[0:1], s[6:7], 2
	s_add_u32 s0, s2, s0
	s_addc_u32 s1, s3, s1
	s_load_dword s0, s[0:1], 0x0
	v_lshlrev_b32_e32 v6, 1, v0
	v_lshlrev_b32_e32 v7, 3, v0
	v_or_b32_e32 v0, 1, v6
	v_add_u32_e32 v8, 2, v6
	s_waitcnt lgkmcnt(0)
	v_cmp_gt_u32_e32 vcc, s0, v0
	s_waitcnt vmcnt(0)
	ds_write_b64 v7, v[2:3] offset:3712
	v_cvt_u32_f64_e32 v9, v[2:3]
	v_add_f64 v[2:3], v[2:3], v[4:5]
	v_cvt_u32_f64_e32 v2, v[2:3]
	v_cvt_u32_f64_e32 v1, v[4:5]
	v_cndmask_b32_e32 v0, v9, v2, vcc
	v_cmp_gt_u32_e32 vcc, s0, v8
	s_waitcnt lgkmcnt(0)
	s_barrier
	s_and_saveexec_b64 s[0:1], vcc
	s_cbranch_execz .LBB128_2
; %bb.1:
	ds_read_b64 v[2:3], v7 offset:3720
	s_waitcnt lgkmcnt(0)
	v_add_f64 v[2:3], v[4:5], v[2:3]
	v_cvt_u32_f64_e32 v1, v[2:3]
.LBB128_2:
	s_or_b64 exec, exec, s[0:1]
	s_lshl_b64 s[0:1], s[4:5], 2
	s_add_u32 s0, s8, s0
	s_addc_u32 s1, s9, s1
	v_lshlrev_b32_e32 v2, 2, v6
	global_store_dwordx2 v2, v[0:1], s[0:1]
	s_endpgm
	.section	.rodata,"a",@progbits
	.p2align	6, 0x0
	.amdhsa_kernel _Z34subtract_right_partial_tile_kernelIdjjN6hipcub3SumELj464ELj2EEvPKT_PiPT1_
		.amdhsa_group_segment_fixed_size 7424
		.amdhsa_private_segment_fixed_size 0
		.amdhsa_kernarg_size 24
		.amdhsa_user_sgpr_count 6
		.amdhsa_user_sgpr_private_segment_buffer 1
		.amdhsa_user_sgpr_dispatch_ptr 0
		.amdhsa_user_sgpr_queue_ptr 0
		.amdhsa_user_sgpr_kernarg_segment_ptr 1
		.amdhsa_user_sgpr_dispatch_id 0
		.amdhsa_user_sgpr_flat_scratch_init 0
		.amdhsa_user_sgpr_kernarg_preload_length 0
		.amdhsa_user_sgpr_kernarg_preload_offset 0
		.amdhsa_user_sgpr_private_segment_size 0
		.amdhsa_uses_dynamic_stack 0
		.amdhsa_system_sgpr_private_segment_wavefront_offset 0
		.amdhsa_system_sgpr_workgroup_id_x 1
		.amdhsa_system_sgpr_workgroup_id_y 0
		.amdhsa_system_sgpr_workgroup_id_z 0
		.amdhsa_system_sgpr_workgroup_info 0
		.amdhsa_system_vgpr_workitem_id 0
		.amdhsa_next_free_vgpr 10
		.amdhsa_next_free_sgpr 12
		.amdhsa_accum_offset 12
		.amdhsa_reserve_vcc 1
		.amdhsa_reserve_flat_scratch 0
		.amdhsa_float_round_mode_32 0
		.amdhsa_float_round_mode_16_64 0
		.amdhsa_float_denorm_mode_32 3
		.amdhsa_float_denorm_mode_16_64 3
		.amdhsa_dx10_clamp 1
		.amdhsa_ieee_mode 1
		.amdhsa_fp16_overflow 0
		.amdhsa_tg_split 0
		.amdhsa_exception_fp_ieee_invalid_op 0
		.amdhsa_exception_fp_denorm_src 0
		.amdhsa_exception_fp_ieee_div_zero 0
		.amdhsa_exception_fp_ieee_overflow 0
		.amdhsa_exception_fp_ieee_underflow 0
		.amdhsa_exception_fp_ieee_inexact 0
		.amdhsa_exception_int_div_zero 0
	.end_amdhsa_kernel
	.section	.text._Z34subtract_right_partial_tile_kernelIdjjN6hipcub3SumELj464ELj2EEvPKT_PiPT1_,"axG",@progbits,_Z34subtract_right_partial_tile_kernelIdjjN6hipcub3SumELj464ELj2EEvPKT_PiPT1_,comdat
.Lfunc_end128:
	.size	_Z34subtract_right_partial_tile_kernelIdjjN6hipcub3SumELj464ELj2EEvPKT_PiPT1_, .Lfunc_end128-_Z34subtract_right_partial_tile_kernelIdjjN6hipcub3SumELj464ELj2EEvPKT_PiPT1_
                                        ; -- End function
	.section	.AMDGPU.csdata,"",@progbits
; Kernel info:
; codeLenInByte = 216
; NumSgprs: 16
; NumVgprs: 10
; NumAgprs: 0
; TotalNumVgprs: 10
; ScratchSize: 0
; MemoryBound: 0
; FloatMode: 240
; IeeeMode: 1
; LDSByteSize: 7424 bytes/workgroup (compile time only)
; SGPRBlocks: 1
; VGPRBlocks: 1
; NumSGPRsForWavesPerEU: 16
; NumVGPRsForWavesPerEU: 10
; AccumOffset: 12
; Occupancy: 8
; WaveLimiterHint : 0
; COMPUTE_PGM_RSRC2:SCRATCH_EN: 0
; COMPUTE_PGM_RSRC2:USER_SGPR: 6
; COMPUTE_PGM_RSRC2:TRAP_HANDLER: 0
; COMPUTE_PGM_RSRC2:TGID_X_EN: 1
; COMPUTE_PGM_RSRC2:TGID_Y_EN: 0
; COMPUTE_PGM_RSRC2:TGID_Z_EN: 0
; COMPUTE_PGM_RSRC2:TIDIG_COMP_CNT: 0
; COMPUTE_PGM_RSRC3_GFX90A:ACCUM_OFFSET: 2
; COMPUTE_PGM_RSRC3_GFX90A:TG_SPLIT: 0
	.section	.text._Z34subtract_right_partial_tile_kernelIdii10custom_op2Lj33ELj5EEvPKT_PiPT1_,"axG",@progbits,_Z34subtract_right_partial_tile_kernelIdii10custom_op2Lj33ELj5EEvPKT_PiPT1_,comdat
	.protected	_Z34subtract_right_partial_tile_kernelIdii10custom_op2Lj33ELj5EEvPKT_PiPT1_ ; -- Begin function _Z34subtract_right_partial_tile_kernelIdii10custom_op2Lj33ELj5EEvPKT_PiPT1_
	.globl	_Z34subtract_right_partial_tile_kernelIdii10custom_op2Lj33ELj5EEvPKT_PiPT1_
	.p2align	8
	.type	_Z34subtract_right_partial_tile_kernelIdii10custom_op2Lj33ELj5EEvPKT_PiPT1_,@function
_Z34subtract_right_partial_tile_kernelIdii10custom_op2Lj33ELj5EEvPKT_PiPT1_: ; @_Z34subtract_right_partial_tile_kernelIdii10custom_op2Lj33ELj5EEvPKT_PiPT1_
; %bb.0:
	s_load_dwordx4 s[0:3], s[4:5], 0x0
	s_load_dwordx2 s[8:9], s[4:5], 0x10
	s_mul_i32 s4, s6, 0xa5
	s_mov_b32 s5, 0
	s_lshl_b64 s[10:11], s[4:5], 3
	s_waitcnt lgkmcnt(0)
	s_add_u32 s0, s0, s10
	v_mul_u32_u24_e32 v5, 5, v0
	s_addc_u32 s1, s1, s11
	v_lshlrev_b32_e32 v1, 3, v5
	global_load_dwordx4 v[10:13], v1, s[0:1]
	global_load_dwordx4 v[14:17], v1, s[0:1] offset:16
	global_load_dwordx2 v[6:7], v1, s[0:1] offset:32
	s_mov_b32 s7, s5
	s_lshl_b64 s[0:1], s[6:7], 2
	s_add_u32 s0, s2, s0
	s_addc_u32 s1, s3, s1
	s_load_dword s0, s[0:1], 0x0
	v_lshlrev_b32_e32 v8, 3, v0
	v_mad_u32_u24 v9, v0, 5, 1
	v_mad_u32_u24 v18, v0, 5, 2
	;; [unrolled: 1-line block ×5, first 2 shown]
	s_waitcnt lgkmcnt(0)
	v_cmp_gt_u32_e32 vcc, s0, v9
	s_waitcnt vmcnt(2)
	v_fma_f64 v[0:1], v[12:13], 2.0, -v[10:11]
	v_cvt_i32_f64_e32 v22, v[10:11]
	s_waitcnt vmcnt(1)
	v_fma_f64 v[2:3], v[14:15], 2.0, -v[12:13]
	v_cvt_i32_f64_e32 v0, v[0:1]
	ds_write_b64 v8, v[10:11] offset:264
	v_cvt_i32_f64_e32 v23, v[12:13]
	v_fma_f64 v[10:11], v[16:17], 2.0, -v[14:15]
	v_cvt_i32_f64_e32 v1, v[2:3]
	v_cndmask_b32_e32 v0, v22, v0, vcc
	v_cmp_gt_u32_e32 vcc, s0, v18
	v_cvt_i32_f64_e32 v24, v[14:15]
	s_waitcnt vmcnt(0)
	v_fma_f64 v[12:13], v[6:7], 2.0, -v[16:17]
	v_cvt_i32_f64_e32 v2, v[10:11]
	v_cndmask_b32_e32 v1, v23, v1, vcc
	v_cmp_gt_u32_e32 vcc, s0, v19
	v_cvt_i32_f64_e32 v14, v[16:17]
	v_cvt_i32_f64_e32 v3, v[12:13]
	v_cndmask_b32_e32 v2, v24, v2, vcc
	v_cmp_gt_u32_e32 vcc, s0, v20
	v_cvt_i32_f64_e32 v4, v[6:7]
	v_cndmask_b32_e32 v3, v14, v3, vcc
	v_cmp_gt_u32_e32 vcc, s0, v21
	s_waitcnt lgkmcnt(0)
	; wave barrier
	s_waitcnt lgkmcnt(0)
	s_and_saveexec_b64 s[0:1], vcc
	s_cbranch_execz .LBB129_2
; %bb.1:
	ds_read_b64 v[8:9], v8 offset:272
	s_waitcnt lgkmcnt(0)
	v_fma_f64 v[6:7], v[8:9], 2.0, -v[6:7]
	v_cvt_i32_f64_e32 v4, v[6:7]
.LBB129_2:
	s_or_b64 exec, exec, s[0:1]
	s_lshl_b64 s[0:1], s[4:5], 2
	s_add_u32 s0, s8, s0
	s_addc_u32 s1, s9, s1
	v_lshlrev_b32_e32 v5, 2, v5
	global_store_dwordx4 v5, v[0:3], s[0:1]
	global_store_dword v5, v4, s[0:1] offset:16
	s_endpgm
	.section	.rodata,"a",@progbits
	.p2align	6, 0x0
	.amdhsa_kernel _Z34subtract_right_partial_tile_kernelIdii10custom_op2Lj33ELj5EEvPKT_PiPT1_
		.amdhsa_group_segment_fixed_size 528
		.amdhsa_private_segment_fixed_size 0
		.amdhsa_kernarg_size 24
		.amdhsa_user_sgpr_count 6
		.amdhsa_user_sgpr_private_segment_buffer 1
		.amdhsa_user_sgpr_dispatch_ptr 0
		.amdhsa_user_sgpr_queue_ptr 0
		.amdhsa_user_sgpr_kernarg_segment_ptr 1
		.amdhsa_user_sgpr_dispatch_id 0
		.amdhsa_user_sgpr_flat_scratch_init 0
		.amdhsa_user_sgpr_kernarg_preload_length 0
		.amdhsa_user_sgpr_kernarg_preload_offset 0
		.amdhsa_user_sgpr_private_segment_size 0
		.amdhsa_uses_dynamic_stack 0
		.amdhsa_system_sgpr_private_segment_wavefront_offset 0
		.amdhsa_system_sgpr_workgroup_id_x 1
		.amdhsa_system_sgpr_workgroup_id_y 0
		.amdhsa_system_sgpr_workgroup_id_z 0
		.amdhsa_system_sgpr_workgroup_info 0
		.amdhsa_system_vgpr_workitem_id 0
		.amdhsa_next_free_vgpr 25
		.amdhsa_next_free_sgpr 12
		.amdhsa_accum_offset 28
		.amdhsa_reserve_vcc 1
		.amdhsa_reserve_flat_scratch 0
		.amdhsa_float_round_mode_32 0
		.amdhsa_float_round_mode_16_64 0
		.amdhsa_float_denorm_mode_32 3
		.amdhsa_float_denorm_mode_16_64 3
		.amdhsa_dx10_clamp 1
		.amdhsa_ieee_mode 1
		.amdhsa_fp16_overflow 0
		.amdhsa_tg_split 0
		.amdhsa_exception_fp_ieee_invalid_op 0
		.amdhsa_exception_fp_denorm_src 0
		.amdhsa_exception_fp_ieee_div_zero 0
		.amdhsa_exception_fp_ieee_overflow 0
		.amdhsa_exception_fp_ieee_underflow 0
		.amdhsa_exception_fp_ieee_inexact 0
		.amdhsa_exception_int_div_zero 0
	.end_amdhsa_kernel
	.section	.text._Z34subtract_right_partial_tile_kernelIdii10custom_op2Lj33ELj5EEvPKT_PiPT1_,"axG",@progbits,_Z34subtract_right_partial_tile_kernelIdii10custom_op2Lj33ELj5EEvPKT_PiPT1_,comdat
.Lfunc_end129:
	.size	_Z34subtract_right_partial_tile_kernelIdii10custom_op2Lj33ELj5EEvPKT_PiPT1_, .Lfunc_end129-_Z34subtract_right_partial_tile_kernelIdii10custom_op2Lj33ELj5EEvPKT_PiPT1_
                                        ; -- End function
	.section	.AMDGPU.csdata,"",@progbits
; Kernel info:
; codeLenInByte = 352
; NumSgprs: 16
; NumVgprs: 25
; NumAgprs: 0
; TotalNumVgprs: 25
; ScratchSize: 0
; MemoryBound: 0
; FloatMode: 240
; IeeeMode: 1
; LDSByteSize: 528 bytes/workgroup (compile time only)
; SGPRBlocks: 1
; VGPRBlocks: 3
; NumSGPRsForWavesPerEU: 16
; NumVGPRsForWavesPerEU: 25
; AccumOffset: 28
; Occupancy: 8
; WaveLimiterHint : 0
; COMPUTE_PGM_RSRC2:SCRATCH_EN: 0
; COMPUTE_PGM_RSRC2:USER_SGPR: 6
; COMPUTE_PGM_RSRC2:TRAP_HANDLER: 0
; COMPUTE_PGM_RSRC2:TGID_X_EN: 1
; COMPUTE_PGM_RSRC2:TGID_Y_EN: 0
; COMPUTE_PGM_RSRC2:TGID_Z_EN: 0
; COMPUTE_PGM_RSRC2:TIDIG_COMP_CNT: 0
; COMPUTE_PGM_RSRC3_GFX90A:ACCUM_OFFSET: 6
; COMPUTE_PGM_RSRC3_GFX90A:TG_SPLIT: 0
	.section	.text._Z34subtract_right_partial_tile_kernelIsss10custom_op1Lj512ELj8EEvPKT_PiPT1_,"axG",@progbits,_Z34subtract_right_partial_tile_kernelIsss10custom_op1Lj512ELj8EEvPKT_PiPT1_,comdat
	.protected	_Z34subtract_right_partial_tile_kernelIsss10custom_op1Lj512ELj8EEvPKT_PiPT1_ ; -- Begin function _Z34subtract_right_partial_tile_kernelIsss10custom_op1Lj512ELj8EEvPKT_PiPT1_
	.globl	_Z34subtract_right_partial_tile_kernelIsss10custom_op1Lj512ELj8EEvPKT_PiPT1_
	.p2align	8
	.type	_Z34subtract_right_partial_tile_kernelIsss10custom_op1Lj512ELj8EEvPKT_PiPT1_,@function
_Z34subtract_right_partial_tile_kernelIsss10custom_op1Lj512ELj8EEvPKT_PiPT1_: ; @_Z34subtract_right_partial_tile_kernelIsss10custom_op1Lj512ELj8EEvPKT_PiPT1_
; %bb.0:
	s_load_dwordx4 s[0:3], s[4:5], 0x0
	s_load_dwordx2 s[8:9], s[4:5], 0x10
	s_lshl_b32 s10, s6, 12
	s_mov_b32 s11, 0
	s_lshl_b64 s[4:5], s[10:11], 1
	s_waitcnt lgkmcnt(0)
	s_add_u32 s0, s0, s4
	s_addc_u32 s1, s1, s5
	v_lshlrev_b32_e32 v1, 4, v0
	global_load_dwordx4 v[2:5], v1, s[0:1]
	s_mov_b32 s7, s11
	s_lshl_b64 s[0:1], s[6:7], 2
	s_add_u32 s0, s2, s0
	s_addc_u32 s1, s3, s1
	s_load_dword s0, s[0:1], 0x0
	v_lshlrev_b32_e32 v6, 3, v0
	s_mov_b32 s12, 0xffff
	v_lshlrev_b32_e32 v7, 1, v0
	v_or_b32_e32 v0, 1, v6
	v_or_b32_e32 v8, 3, v6
	s_waitcnt lgkmcnt(0)
	v_cmp_gt_u32_e32 vcc, s0, v0
	v_or_b32_e32 v10, 5, v6
	v_or_b32_e32 v12, 7, v6
	s_mov_b32 s10, 0x5040100
	v_or_b32_e32 v1, 2, v6
	v_or_b32_e32 v9, 4, v6
	;; [unrolled: 1-line block ×3, first 2 shown]
	v_add_u32_e32 v13, 8, v6
	s_waitcnt vmcnt(0)
	v_sub_u16_sdwa v14, v2, v2 dst_sel:DWORD dst_unused:UNUSED_PAD src0_sel:DWORD src1_sel:WORD_1
	v_sub_u16_sdwa v17, v3, v3 dst_sel:DWORD dst_unused:UNUSED_PAD src0_sel:DWORD src1_sel:WORD_1
	v_bfi_b32 v14, s12, v14, v2
	v_bfi_b32 v16, s12, v3, v3
	v_sub_u16_sdwa v19, v4, v4 dst_sel:DWORD dst_unused:UNUSED_PAD src0_sel:DWORD src1_sel:WORD_1
	v_bfi_b32 v17, s12, v17, v3
	v_cndmask_b32_e32 v0, v2, v14, vcc
	v_cmp_gt_u32_e32 vcc, s0, v8
	v_sub_u16_sdwa v22, v5, v5 dst_sel:DWORD dst_unused:UNUSED_PAD src0_sel:DWORD src1_sel:WORD_1
	v_bfi_b32 v19, s12, v19, v4
	v_cndmask_b32_e32 v8, v16, v17, vcc
	v_cmp_gt_u32_e32 vcc, s0, v10
	v_sub_u16_sdwa v15, v2, v3 dst_sel:DWORD dst_unused:UNUSED_PAD src0_sel:WORD_1 src1_sel:DWORD
	v_bfi_b32 v21, s12, v5, v5
	v_bfi_b32 v22, s12, v22, v5
	v_cndmask_b32_e32 v10, v4, v19, vcc
	v_cmp_gt_u32_e32 vcc, s0, v12
	ds_write_b16 v7, v2 offset:1024
	v_sub_u16_sdwa v18, v3, v4 dst_sel:DWORD dst_unused:UNUSED_PAD src0_sel:WORD_1 src1_sel:DWORD
	v_cndmask_b32_e32 v12, v21, v22, vcc
	v_bfi_b32 v2, s12, v0, v2
	v_perm_b32 v0, v15, v0, s10
	v_cmp_gt_u32_e32 vcc, s0, v1
	v_sub_u16_sdwa v20, v4, v5 dst_sel:DWORD dst_unused:UNUSED_PAD src0_sel:WORD_1 src1_sel:DWORD
	v_bfi_b32 v14, s12, v8, v3
	v_perm_b32 v8, v18, v8, s10
	v_cndmask_b32_e32 v0, v2, v0, vcc
	v_cmp_gt_u32_e32 vcc, s0, v9
	v_bfi_b32 v4, s12, v10, v4
	v_perm_b32 v10, v20, v10, s10
	v_cndmask_b32_e32 v1, v14, v8, vcc
	v_cmp_gt_u32_e32 vcc, s0, v11
	v_bfi_b32 v3, s12, v12, v5
	v_cndmask_b32_e32 v2, v4, v10, vcc
	v_cmp_gt_u32_e32 vcc, s0, v13
	s_waitcnt lgkmcnt(0)
	s_barrier
	s_and_saveexec_b64 s[0:1], vcc
	s_cbranch_execz .LBB130_2
; %bb.1:
	ds_read_u16 v4, v7 offset:1026
	s_waitcnt lgkmcnt(0)
	v_sub_u16_sdwa v4, v5, v4 dst_sel:DWORD dst_unused:UNUSED_PAD src0_sel:WORD_1 src1_sel:DWORD
	v_perm_b32 v3, v4, v3, s10
.LBB130_2:
	s_or_b64 exec, exec, s[0:1]
	s_add_u32 s0, s8, s4
	s_addc_u32 s1, s9, s5
	v_lshlrev_b32_e32 v4, 1, v6
	global_store_dwordx4 v4, v[0:3], s[0:1]
	s_endpgm
	.section	.rodata,"a",@progbits
	.p2align	6, 0x0
	.amdhsa_kernel _Z34subtract_right_partial_tile_kernelIsss10custom_op1Lj512ELj8EEvPKT_PiPT1_
		.amdhsa_group_segment_fixed_size 2048
		.amdhsa_private_segment_fixed_size 0
		.amdhsa_kernarg_size 24
		.amdhsa_user_sgpr_count 6
		.amdhsa_user_sgpr_private_segment_buffer 1
		.amdhsa_user_sgpr_dispatch_ptr 0
		.amdhsa_user_sgpr_queue_ptr 0
		.amdhsa_user_sgpr_kernarg_segment_ptr 1
		.amdhsa_user_sgpr_dispatch_id 0
		.amdhsa_user_sgpr_flat_scratch_init 0
		.amdhsa_user_sgpr_kernarg_preload_length 0
		.amdhsa_user_sgpr_kernarg_preload_offset 0
		.amdhsa_user_sgpr_private_segment_size 0
		.amdhsa_uses_dynamic_stack 0
		.amdhsa_system_sgpr_private_segment_wavefront_offset 0
		.amdhsa_system_sgpr_workgroup_id_x 1
		.amdhsa_system_sgpr_workgroup_id_y 0
		.amdhsa_system_sgpr_workgroup_id_z 0
		.amdhsa_system_sgpr_workgroup_info 0
		.amdhsa_system_vgpr_workitem_id 0
		.amdhsa_next_free_vgpr 23
		.amdhsa_next_free_sgpr 13
		.amdhsa_accum_offset 24
		.amdhsa_reserve_vcc 1
		.amdhsa_reserve_flat_scratch 0
		.amdhsa_float_round_mode_32 0
		.amdhsa_float_round_mode_16_64 0
		.amdhsa_float_denorm_mode_32 3
		.amdhsa_float_denorm_mode_16_64 3
		.amdhsa_dx10_clamp 1
		.amdhsa_ieee_mode 1
		.amdhsa_fp16_overflow 0
		.amdhsa_tg_split 0
		.amdhsa_exception_fp_ieee_invalid_op 0
		.amdhsa_exception_fp_denorm_src 0
		.amdhsa_exception_fp_ieee_div_zero 0
		.amdhsa_exception_fp_ieee_overflow 0
		.amdhsa_exception_fp_ieee_underflow 0
		.amdhsa_exception_fp_ieee_inexact 0
		.amdhsa_exception_int_div_zero 0
	.end_amdhsa_kernel
	.section	.text._Z34subtract_right_partial_tile_kernelIsss10custom_op1Lj512ELj8EEvPKT_PiPT1_,"axG",@progbits,_Z34subtract_right_partial_tile_kernelIsss10custom_op1Lj512ELj8EEvPKT_PiPT1_,comdat
.Lfunc_end130:
	.size	_Z34subtract_right_partial_tile_kernelIsss10custom_op1Lj512ELj8EEvPKT_PiPT1_, .Lfunc_end130-_Z34subtract_right_partial_tile_kernelIsss10custom_op1Lj512ELj8EEvPKT_PiPT1_
                                        ; -- End function
	.section	.AMDGPU.csdata,"",@progbits
; Kernel info:
; codeLenInByte = 440
; NumSgprs: 17
; NumVgprs: 23
; NumAgprs: 0
; TotalNumVgprs: 23
; ScratchSize: 0
; MemoryBound: 0
; FloatMode: 240
; IeeeMode: 1
; LDSByteSize: 2048 bytes/workgroup (compile time only)
; SGPRBlocks: 2
; VGPRBlocks: 2
; NumSGPRsForWavesPerEU: 17
; NumVGPRsForWavesPerEU: 23
; AccumOffset: 24
; Occupancy: 8
; WaveLimiterHint : 0
; COMPUTE_PGM_RSRC2:SCRATCH_EN: 0
; COMPUTE_PGM_RSRC2:USER_SGPR: 6
; COMPUTE_PGM_RSRC2:TRAP_HANDLER: 0
; COMPUTE_PGM_RSRC2:TGID_X_EN: 1
; COMPUTE_PGM_RSRC2:TGID_Y_EN: 0
; COMPUTE_PGM_RSRC2:TGID_Z_EN: 0
; COMPUTE_PGM_RSRC2:TIDIG_COMP_CNT: 0
; COMPUTE_PGM_RSRC3_GFX90A:ACCUM_OFFSET: 5
; COMPUTE_PGM_RSRC3_GFX90A:TG_SPLIT: 0
	.section	.text._Z34subtract_right_partial_tile_kernelIthhN6hipcub3SumELj256ELj7EEvPKT_PiPT1_,"axG",@progbits,_Z34subtract_right_partial_tile_kernelIthhN6hipcub3SumELj256ELj7EEvPKT_PiPT1_,comdat
	.protected	_Z34subtract_right_partial_tile_kernelIthhN6hipcub3SumELj256ELj7EEvPKT_PiPT1_ ; -- Begin function _Z34subtract_right_partial_tile_kernelIthhN6hipcub3SumELj256ELj7EEvPKT_PiPT1_
	.globl	_Z34subtract_right_partial_tile_kernelIthhN6hipcub3SumELj256ELj7EEvPKT_PiPT1_
	.p2align	8
	.type	_Z34subtract_right_partial_tile_kernelIthhN6hipcub3SumELj256ELj7EEvPKT_PiPT1_,@function
_Z34subtract_right_partial_tile_kernelIthhN6hipcub3SumELj256ELj7EEvPKT_PiPT1_: ; @_Z34subtract_right_partial_tile_kernelIthhN6hipcub3SumELj256ELj7EEvPKT_PiPT1_
; %bb.0:
	s_load_dwordx4 s[0:3], s[4:5], 0x0
	s_load_dwordx2 s[8:9], s[4:5], 0x10
	s_mul_i32 s4, s6, 0x700
	s_mov_b32 s5, 0
	s_lshl_b64 s[10:11], s[4:5], 1
	s_waitcnt lgkmcnt(0)
	s_add_u32 s0, s0, s10
	v_mul_u32_u24_e32 v2, 7, v0
	s_addc_u32 s1, s1, s11
	v_lshlrev_b32_e32 v1, 1, v2
	global_load_dwordx3 v[6:8], v1, s[0:1]
	global_load_ushort v3, v1, s[0:1] offset:12
	s_mov_b32 s7, s5
	s_lshl_b64 s[0:1], s[6:7], 2
	s_add_u32 s0, s2, s0
	s_addc_u32 s1, s3, s1
	s_load_dword s0, s[0:1], 0x0
	v_lshlrev_b32_e32 v5, 1, v0
	v_mad_u32_u24 v1, v0, 7, 1
	v_mad_u32_u24 v9, v0, 7, 2
	;; [unrolled: 1-line block ×7, first 2 shown]
	s_waitcnt lgkmcnt(0)
	v_cmp_gt_u32_e32 vcc, s0, v1
	v_mov_b32_e32 v4, 8
	s_mov_b32 s11, 0xffff
	s_mov_b32 s10, 0x3020104
	s_waitcnt vmcnt(1)
	v_add_u16_sdwa v0, v6, v6 dst_sel:DWORD dst_unused:UNUSED_PAD src0_sel:WORD_1 src1_sel:DWORD
	v_and_b32_e32 v15, 0xff, v6
	v_add_u16_sdwa v18, v7, v7 dst_sel:DWORD dst_unused:UNUSED_PAD src0_sel:WORD_1 src1_sel:DWORD
	v_and_b32_e32 v0, 0xff, v0
	v_and_b32_e32 v17, 0xff, v7
	v_add_u16_sdwa v21, v8, v8 dst_sel:DWORD dst_unused:UNUSED_PAD src0_sel:WORD_1 src1_sel:DWORD
	v_and_b32_e32 v18, 0xff, v18
	v_cndmask_b32_e32 v0, v15, v0, vcc
	v_cmp_gt_u32_e32 vcc, s0, v10
	ds_write_b16 v5, v6 offset:512
	v_lshlrev_b16_sdwa v16, v4, v6 dst_sel:DWORD dst_unused:UNUSED_PAD src0_sel:DWORD src1_sel:WORD_1
	v_add_u16_sdwa v6, v7, v6 dst_sel:BYTE_1 dst_unused:UNUSED_PAD src0_sel:DWORD src1_sel:WORD_1
	v_lshlrev_b16_sdwa v19, v4, v7 dst_sel:DWORD dst_unused:UNUSED_PAD src0_sel:DWORD src1_sel:WORD_1
	v_add_u16_sdwa v7, v8, v7 dst_sel:BYTE_1 dst_unused:UNUSED_PAD src0_sel:DWORD src1_sel:WORD_1
	v_and_b32_e32 v20, 0xff, v8
	v_and_b32_sdwa v21, s11, v21 dst_sel:DWORD dst_unused:UNUSED_PAD src0_sel:DWORD src1_sel:BYTE_0
	v_cndmask_b32_e32 v1, v17, v18, vcc
	v_cmp_gt_u32_e32 vcc, s0, v12
	v_lshlrev_b16_sdwa v22, v4, v8 dst_sel:DWORD dst_unused:UNUSED_PAD src0_sel:DWORD src1_sel:WORD_1
	s_waitcnt vmcnt(0)
	v_add_u16_sdwa v8, v3, v8 dst_sel:BYTE_1 dst_unused:UNUSED_PAD src0_sel:DWORD src1_sel:WORD_1
	v_cndmask_b32_e32 v10, v20, v21, vcc
	v_or_b32_e32 v12, v0, v16
	v_or_b32_e32 v0, v0, v6
	;; [unrolled: 1-line block ×4, first 2 shown]
	v_cmp_gt_u32_e32 vcc, s0, v11
	v_or_b32_sdwa v7, v10, v22 dst_sel:DWORD dst_unused:UNUSED_PAD src0_sel:BYTE_0 src1_sel:DWORD
	v_or_b32_sdwa v8, v10, v8 dst_sel:DWORD dst_unused:UNUSED_PAD src0_sel:BYTE_0 src1_sel:DWORD
	v_and_b32_e32 v0, 0xffff, v0
	v_and_b32_e32 v10, 0xffff, v12
	v_cndmask_b32_e32 v1, v6, v1, vcc
	v_cmp_gt_u32_e32 vcc, s0, v9
	v_and_b32_e32 v6, 0xffff, v7
	v_and_b32_e32 v7, 0xffff, v8
	v_cndmask_b32_e32 v0, v10, v0, vcc
	v_cmp_gt_u32_e32 vcc, s0, v13
	v_cndmask_b32_e32 v6, v6, v7, vcc
	v_and_b32_e32 v23, 0xff, v3
	v_lshl_or_b32 v0, v1, 16, v0
	v_lshrrev_b32_sdwa v1, v4, v6 dst_sel:BYTE_1 dst_unused:UNUSED_PAD src0_sel:DWORD src1_sel:DWORD
	v_lshlrev_b32_e32 v23, 16, v23
	v_or_b32_sdwa v1, v6, v1 dst_sel:DWORD dst_unused:UNUSED_PAD src0_sel:BYTE_0 src1_sel:DWORD
	v_perm_b32 v0, v0, v0, s10
	v_or_b32_sdwa v1, v1, v23 dst_sel:DWORD dst_unused:UNUSED_PAD src0_sel:WORD_0 src1_sel:DWORD
	v_cmp_gt_u32_e32 vcc, s0, v14
	s_waitcnt lgkmcnt(0)
	s_barrier
	s_and_saveexec_b64 s[0:1], vcc
	s_cbranch_execz .LBB131_2
; %bb.1:
	ds_read_u8 v5, v5 offset:514
	v_lshrrev_b32_sdwa v4, v4, v1 dst_sel:BYTE_1 dst_unused:UNUSED_PAD src0_sel:DWORD src1_sel:DWORD
	v_or_b32_sdwa v1, v1, v4 dst_sel:DWORD dst_unused:UNUSED_PAD src0_sel:BYTE_0 src1_sel:DWORD
	v_perm_b32 v0, v0, v0, s10
	s_waitcnt lgkmcnt(0)
	v_add_u16_e32 v3, v5, v3
	v_and_b32_e32 v3, 0xff, v3
	v_lshlrev_b32_e32 v3, 16, v3
	v_or_b32_sdwa v1, v1, v3 dst_sel:DWORD dst_unused:UNUSED_PAD src0_sel:WORD_0 src1_sel:DWORD
.LBB131_2:
	s_or_b64 exec, exec, s[0:1]
	s_add_u32 s0, s8, s4
	s_addc_u32 s1, s9, 0
	v_mov_b32_e32 v3, s1
	v_add_co_u32_e32 v2, vcc, s0, v2
	v_addc_co_u32_e32 v3, vcc, 0, v3, vcc
	global_store_byte_d16_hi v[2:3], v1, off offset:6
	global_store_short v[2:3], v1, off offset:4
	global_store_dword v[2:3], v0, off
	s_endpgm
	.section	.rodata,"a",@progbits
	.p2align	6, 0x0
	.amdhsa_kernel _Z34subtract_right_partial_tile_kernelIthhN6hipcub3SumELj256ELj7EEvPKT_PiPT1_
		.amdhsa_group_segment_fixed_size 1024
		.amdhsa_private_segment_fixed_size 0
		.amdhsa_kernarg_size 24
		.amdhsa_user_sgpr_count 6
		.amdhsa_user_sgpr_private_segment_buffer 1
		.amdhsa_user_sgpr_dispatch_ptr 0
		.amdhsa_user_sgpr_queue_ptr 0
		.amdhsa_user_sgpr_kernarg_segment_ptr 1
		.amdhsa_user_sgpr_dispatch_id 0
		.amdhsa_user_sgpr_flat_scratch_init 0
		.amdhsa_user_sgpr_kernarg_preload_length 0
		.amdhsa_user_sgpr_kernarg_preload_offset 0
		.amdhsa_user_sgpr_private_segment_size 0
		.amdhsa_uses_dynamic_stack 0
		.amdhsa_system_sgpr_private_segment_wavefront_offset 0
		.amdhsa_system_sgpr_workgroup_id_x 1
		.amdhsa_system_sgpr_workgroup_id_y 0
		.amdhsa_system_sgpr_workgroup_id_z 0
		.amdhsa_system_sgpr_workgroup_info 0
		.amdhsa_system_vgpr_workitem_id 0
		.amdhsa_next_free_vgpr 24
		.amdhsa_next_free_sgpr 12
		.amdhsa_accum_offset 24
		.amdhsa_reserve_vcc 1
		.amdhsa_reserve_flat_scratch 0
		.amdhsa_float_round_mode_32 0
		.amdhsa_float_round_mode_16_64 0
		.amdhsa_float_denorm_mode_32 3
		.amdhsa_float_denorm_mode_16_64 3
		.amdhsa_dx10_clamp 1
		.amdhsa_ieee_mode 1
		.amdhsa_fp16_overflow 0
		.amdhsa_tg_split 0
		.amdhsa_exception_fp_ieee_invalid_op 0
		.amdhsa_exception_fp_denorm_src 0
		.amdhsa_exception_fp_ieee_div_zero 0
		.amdhsa_exception_fp_ieee_overflow 0
		.amdhsa_exception_fp_ieee_underflow 0
		.amdhsa_exception_fp_ieee_inexact 0
		.amdhsa_exception_int_div_zero 0
	.end_amdhsa_kernel
	.section	.text._Z34subtract_right_partial_tile_kernelIthhN6hipcub3SumELj256ELj7EEvPKT_PiPT1_,"axG",@progbits,_Z34subtract_right_partial_tile_kernelIthhN6hipcub3SumELj256ELj7EEvPKT_PiPT1_,comdat
.Lfunc_end131:
	.size	_Z34subtract_right_partial_tile_kernelIthhN6hipcub3SumELj256ELj7EEvPKT_PiPT1_, .Lfunc_end131-_Z34subtract_right_partial_tile_kernelIthhN6hipcub3SumELj256ELj7EEvPKT_PiPT1_
                                        ; -- End function
	.section	.AMDGPU.csdata,"",@progbits
; Kernel info:
; codeLenInByte = 608
; NumSgprs: 16
; NumVgprs: 24
; NumAgprs: 0
; TotalNumVgprs: 24
; ScratchSize: 0
; MemoryBound: 0
; FloatMode: 240
; IeeeMode: 1
; LDSByteSize: 1024 bytes/workgroup (compile time only)
; SGPRBlocks: 1
; VGPRBlocks: 2
; NumSGPRsForWavesPerEU: 16
; NumVGPRsForWavesPerEU: 24
; AccumOffset: 24
; Occupancy: 8
; WaveLimiterHint : 0
; COMPUTE_PGM_RSRC2:SCRATCH_EN: 0
; COMPUTE_PGM_RSRC2:USER_SGPR: 6
; COMPUTE_PGM_RSRC2:TRAP_HANDLER: 0
; COMPUTE_PGM_RSRC2:TGID_X_EN: 1
; COMPUTE_PGM_RSRC2:TGID_Y_EN: 0
; COMPUTE_PGM_RSRC2:TGID_Z_EN: 0
; COMPUTE_PGM_RSRC2:TIDIG_COMP_CNT: 0
; COMPUTE_PGM_RSRC3_GFX90A:ACCUM_OFFSET: 5
; COMPUTE_PGM_RSRC3_GFX90A:TG_SPLIT: 0
	.section	.text._Z34subtract_right_partial_tile_kernelIiss10custom_op2Lj128ELj4EEvPKT_PiPT1_,"axG",@progbits,_Z34subtract_right_partial_tile_kernelIiss10custom_op2Lj128ELj4EEvPKT_PiPT1_,comdat
	.protected	_Z34subtract_right_partial_tile_kernelIiss10custom_op2Lj128ELj4EEvPKT_PiPT1_ ; -- Begin function _Z34subtract_right_partial_tile_kernelIiss10custom_op2Lj128ELj4EEvPKT_PiPT1_
	.globl	_Z34subtract_right_partial_tile_kernelIiss10custom_op2Lj128ELj4EEvPKT_PiPT1_
	.p2align	8
	.type	_Z34subtract_right_partial_tile_kernelIiss10custom_op2Lj128ELj4EEvPKT_PiPT1_,@function
_Z34subtract_right_partial_tile_kernelIiss10custom_op2Lj128ELj4EEvPKT_PiPT1_: ; @_Z34subtract_right_partial_tile_kernelIiss10custom_op2Lj128ELj4EEvPKT_PiPT1_
; %bb.0:
	s_load_dwordx4 s[0:3], s[4:5], 0x0
	s_load_dwordx2 s[8:9], s[4:5], 0x10
	s_lshl_b32 s4, s6, 9
	s_mov_b32 s5, 0
	s_lshl_b64 s[10:11], s[4:5], 2
	s_waitcnt lgkmcnt(0)
	s_add_u32 s0, s0, s10
	s_addc_u32 s1, s1, s11
	v_lshlrev_b32_e32 v1, 4, v0
	global_load_dwordx4 v[2:5], v1, s[0:1]
	s_mov_b32 s7, s5
	s_lshl_b64 s[0:1], s[6:7], 2
	s_add_u32 s0, s2, s0
	s_addc_u32 s1, s3, s1
	s_load_dword s0, s[0:1], 0x0
	v_lshlrev_b32_e32 v6, 2, v0
	v_or_b32_e32 v0, 1, v6
	v_or_b32_e32 v7, 3, v6
	s_mov_b32 s10, 0x5040100
	s_waitcnt lgkmcnt(0)
	v_cmp_gt_u32_e32 vcc, s0, v0
	v_or_b32_e32 v1, 2, v6
	v_add_u32_e32 v8, 4, v6
	s_waitcnt vmcnt(0)
	v_lshlrev_b32_e32 v9, 1, v3
	v_lshlrev_b32_e32 v12, 1, v5
	;; [unrolled: 1-line block ×3, first 2 shown]
	v_and_b32_e32 v11, 0xffff, v4
	v_sub_u32_e32 v9, v9, v2
	v_sub_u32_e32 v4, v12, v4
	ds_write_b32 v6, v2 offset:512
	v_sub_u32_e32 v10, v10, v3
	v_cndmask_b32_e32 v0, v2, v9, vcc
	v_and_b32_e32 v2, 0xffff, v4
	v_cmp_gt_u32_e32 vcc, s0, v7
	v_perm_b32 v3, v3, v0, s10
	v_perm_b32 v0, v10, v0, s10
	v_cndmask_b32_e32 v2, v11, v2, vcc
	v_cmp_gt_u32_e32 vcc, s0, v1
	v_cndmask_b32_e32 v0, v3, v0, vcc
	v_perm_b32 v1, v5, v2, s10
	v_cmp_gt_u32_e32 vcc, s0, v8
	s_waitcnt lgkmcnt(0)
	s_barrier
	s_and_saveexec_b64 s[0:1], vcc
	s_cbranch_execz .LBB132_2
; %bb.1:
	ds_read_b32 v2, v6 offset:516
	s_waitcnt lgkmcnt(0)
	v_lshlrev_b32_e32 v2, 1, v2
	v_sub_u32_e32 v2, v2, v5
	v_perm_b32 v1, v2, v1, s10
.LBB132_2:
	s_or_b64 exec, exec, s[0:1]
	s_lshl_b64 s[0:1], s[4:5], 1
	s_add_u32 s0, s8, s0
	s_addc_u32 s1, s9, s1
	v_lshlrev_b32_e32 v2, 1, v6
	global_store_dwordx2 v2, v[0:1], s[0:1]
	s_endpgm
	.section	.rodata,"a",@progbits
	.p2align	6, 0x0
	.amdhsa_kernel _Z34subtract_right_partial_tile_kernelIiss10custom_op2Lj128ELj4EEvPKT_PiPT1_
		.amdhsa_group_segment_fixed_size 1024
		.amdhsa_private_segment_fixed_size 0
		.amdhsa_kernarg_size 24
		.amdhsa_user_sgpr_count 6
		.amdhsa_user_sgpr_private_segment_buffer 1
		.amdhsa_user_sgpr_dispatch_ptr 0
		.amdhsa_user_sgpr_queue_ptr 0
		.amdhsa_user_sgpr_kernarg_segment_ptr 1
		.amdhsa_user_sgpr_dispatch_id 0
		.amdhsa_user_sgpr_flat_scratch_init 0
		.amdhsa_user_sgpr_kernarg_preload_length 0
		.amdhsa_user_sgpr_kernarg_preload_offset 0
		.amdhsa_user_sgpr_private_segment_size 0
		.amdhsa_uses_dynamic_stack 0
		.amdhsa_system_sgpr_private_segment_wavefront_offset 0
		.amdhsa_system_sgpr_workgroup_id_x 1
		.amdhsa_system_sgpr_workgroup_id_y 0
		.amdhsa_system_sgpr_workgroup_id_z 0
		.amdhsa_system_sgpr_workgroup_info 0
		.amdhsa_system_vgpr_workitem_id 0
		.amdhsa_next_free_vgpr 13
		.amdhsa_next_free_sgpr 12
		.amdhsa_accum_offset 16
		.amdhsa_reserve_vcc 1
		.amdhsa_reserve_flat_scratch 0
		.amdhsa_float_round_mode_32 0
		.amdhsa_float_round_mode_16_64 0
		.amdhsa_float_denorm_mode_32 3
		.amdhsa_float_denorm_mode_16_64 3
		.amdhsa_dx10_clamp 1
		.amdhsa_ieee_mode 1
		.amdhsa_fp16_overflow 0
		.amdhsa_tg_split 0
		.amdhsa_exception_fp_ieee_invalid_op 0
		.amdhsa_exception_fp_denorm_src 0
		.amdhsa_exception_fp_ieee_div_zero 0
		.amdhsa_exception_fp_ieee_overflow 0
		.amdhsa_exception_fp_ieee_underflow 0
		.amdhsa_exception_fp_ieee_inexact 0
		.amdhsa_exception_int_div_zero 0
	.end_amdhsa_kernel
	.section	.text._Z34subtract_right_partial_tile_kernelIiss10custom_op2Lj128ELj4EEvPKT_PiPT1_,"axG",@progbits,_Z34subtract_right_partial_tile_kernelIiss10custom_op2Lj128ELj4EEvPKT_PiPT1_,comdat
.Lfunc_end132:
	.size	_Z34subtract_right_partial_tile_kernelIiss10custom_op2Lj128ELj4EEvPKT_PiPT1_, .Lfunc_end132-_Z34subtract_right_partial_tile_kernelIiss10custom_op2Lj128ELj4EEvPKT_PiPT1_
                                        ; -- End function
	.section	.AMDGPU.csdata,"",@progbits
; Kernel info:
; codeLenInByte = 288
; NumSgprs: 16
; NumVgprs: 13
; NumAgprs: 0
; TotalNumVgprs: 13
; ScratchSize: 0
; MemoryBound: 0
; FloatMode: 240
; IeeeMode: 1
; LDSByteSize: 1024 bytes/workgroup (compile time only)
; SGPRBlocks: 1
; VGPRBlocks: 1
; NumSGPRsForWavesPerEU: 16
; NumVGPRsForWavesPerEU: 13
; AccumOffset: 16
; Occupancy: 8
; WaveLimiterHint : 0
; COMPUTE_PGM_RSRC2:SCRATCH_EN: 0
; COMPUTE_PGM_RSRC2:USER_SGPR: 6
; COMPUTE_PGM_RSRC2:TRAP_HANDLER: 0
; COMPUTE_PGM_RSRC2:TGID_X_EN: 1
; COMPUTE_PGM_RSRC2:TGID_Y_EN: 0
; COMPUTE_PGM_RSRC2:TGID_Z_EN: 0
; COMPUTE_PGM_RSRC2:TIDIG_COMP_CNT: 0
; COMPUTE_PGM_RSRC3_GFX90A:ACCUM_OFFSET: 3
; COMPUTE_PGM_RSRC3_GFX90A:TG_SPLIT: 0
	.section	.text._Z34subtract_right_partial_tile_kernelIicc10custom_op1Lj64ELj2EEvPKT_PiPT1_,"axG",@progbits,_Z34subtract_right_partial_tile_kernelIicc10custom_op1Lj64ELj2EEvPKT_PiPT1_,comdat
	.protected	_Z34subtract_right_partial_tile_kernelIicc10custom_op1Lj64ELj2EEvPKT_PiPT1_ ; -- Begin function _Z34subtract_right_partial_tile_kernelIicc10custom_op1Lj64ELj2EEvPKT_PiPT1_
	.globl	_Z34subtract_right_partial_tile_kernelIicc10custom_op1Lj64ELj2EEvPKT_PiPT1_
	.p2align	8
	.type	_Z34subtract_right_partial_tile_kernelIicc10custom_op1Lj64ELj2EEvPKT_PiPT1_,@function
_Z34subtract_right_partial_tile_kernelIicc10custom_op1Lj64ELj2EEvPKT_PiPT1_: ; @_Z34subtract_right_partial_tile_kernelIicc10custom_op1Lj64ELj2EEvPKT_PiPT1_
; %bb.0:
	s_load_dwordx4 s[8:11], s[4:5], 0x0
	s_load_dwordx2 s[0:1], s[4:5], 0x10
	s_lshl_b32 s2, s6, 7
	s_mov_b32 s3, 0
	s_lshl_b64 s[4:5], s[2:3], 2
	s_waitcnt lgkmcnt(0)
	s_add_u32 s4, s8, s4
	s_addc_u32 s5, s9, s5
	v_lshlrev_b32_e32 v1, 3, v0
	global_load_dwordx2 v[2:3], v1, s[4:5]
	s_mov_b32 s7, s3
	s_lshl_b64 s[4:5], s[6:7], 2
	s_add_u32 s4, s10, s4
	s_addc_u32 s5, s11, s5
	s_load_dword s3, s[4:5], 0x0
	v_lshlrev_b32_e32 v1, 1, v0
	v_or_b32_e32 v4, 1, v1
	v_lshlrev_b32_e32 v0, 2, v0
	v_add_u32_e32 v5, 2, v1
	s_waitcnt lgkmcnt(0)
	v_cmp_gt_u32_e32 vcc, s3, v4
	s_waitcnt vmcnt(0)
	v_sub_u32_e32 v6, v2, v3
	ds_write_b32 v0, v2 offset:256
	v_lshlrev_b16_e32 v7, 8, v3
	v_cndmask_b32_e32 v2, v2, v6, vcc
	v_or_b32_sdwa v2, v2, v7 dst_sel:DWORD dst_unused:UNUSED_PAD src0_sel:BYTE_0 src1_sel:DWORD
	v_and_b32_e32 v2, 0xffff, v2
	v_cmp_gt_u32_e32 vcc, s3, v5
	s_waitcnt lgkmcnt(0)
	; wave barrier
	s_waitcnt lgkmcnt(0)
	s_and_saveexec_b64 s[4:5], vcc
	s_cbranch_execz .LBB133_2
; %bb.1:
	ds_read_b32 v0, v0 offset:260
	s_waitcnt lgkmcnt(0)
	v_sub_u32_sdwa v0, v3, v0 dst_sel:BYTE_1 dst_unused:UNUSED_PAD src0_sel:DWORD src1_sel:DWORD
	v_or_b32_sdwa v0, v2, v0 dst_sel:DWORD dst_unused:UNUSED_PAD src0_sel:BYTE_0 src1_sel:DWORD
	v_and_b32_e32 v2, 0xffff, v0
.LBB133_2:
	s_or_b64 exec, exec, s[4:5]
	s_add_u32 s0, s0, s2
	s_addc_u32 s1, s1, 0
	v_mov_b32_e32 v3, s1
	v_add_co_u32_e32 v0, vcc, s0, v1
	v_addc_co_u32_e32 v1, vcc, 0, v3, vcc
	global_store_short v[0:1], v2, off
	s_endpgm
	.section	.rodata,"a",@progbits
	.p2align	6, 0x0
	.amdhsa_kernel _Z34subtract_right_partial_tile_kernelIicc10custom_op1Lj64ELj2EEvPKT_PiPT1_
		.amdhsa_group_segment_fixed_size 512
		.amdhsa_private_segment_fixed_size 0
		.amdhsa_kernarg_size 24
		.amdhsa_user_sgpr_count 6
		.amdhsa_user_sgpr_private_segment_buffer 1
		.amdhsa_user_sgpr_dispatch_ptr 0
		.amdhsa_user_sgpr_queue_ptr 0
		.amdhsa_user_sgpr_kernarg_segment_ptr 1
		.amdhsa_user_sgpr_dispatch_id 0
		.amdhsa_user_sgpr_flat_scratch_init 0
		.amdhsa_user_sgpr_kernarg_preload_length 0
		.amdhsa_user_sgpr_kernarg_preload_offset 0
		.amdhsa_user_sgpr_private_segment_size 0
		.amdhsa_uses_dynamic_stack 0
		.amdhsa_system_sgpr_private_segment_wavefront_offset 0
		.amdhsa_system_sgpr_workgroup_id_x 1
		.amdhsa_system_sgpr_workgroup_id_y 0
		.amdhsa_system_sgpr_workgroup_id_z 0
		.amdhsa_system_sgpr_workgroup_info 0
		.amdhsa_system_vgpr_workitem_id 0
		.amdhsa_next_free_vgpr 8
		.amdhsa_next_free_sgpr 12
		.amdhsa_accum_offset 8
		.amdhsa_reserve_vcc 1
		.amdhsa_reserve_flat_scratch 0
		.amdhsa_float_round_mode_32 0
		.amdhsa_float_round_mode_16_64 0
		.amdhsa_float_denorm_mode_32 3
		.amdhsa_float_denorm_mode_16_64 3
		.amdhsa_dx10_clamp 1
		.amdhsa_ieee_mode 1
		.amdhsa_fp16_overflow 0
		.amdhsa_tg_split 0
		.amdhsa_exception_fp_ieee_invalid_op 0
		.amdhsa_exception_fp_denorm_src 0
		.amdhsa_exception_fp_ieee_div_zero 0
		.amdhsa_exception_fp_ieee_overflow 0
		.amdhsa_exception_fp_ieee_underflow 0
		.amdhsa_exception_fp_ieee_inexact 0
		.amdhsa_exception_int_div_zero 0
	.end_amdhsa_kernel
	.section	.text._Z34subtract_right_partial_tile_kernelIicc10custom_op1Lj64ELj2EEvPKT_PiPT1_,"axG",@progbits,_Z34subtract_right_partial_tile_kernelIicc10custom_op1Lj64ELj2EEvPKT_PiPT1_,comdat
.Lfunc_end133:
	.size	_Z34subtract_right_partial_tile_kernelIicc10custom_op1Lj64ELj2EEvPKT_PiPT1_, .Lfunc_end133-_Z34subtract_right_partial_tile_kernelIicc10custom_op1Lj64ELj2EEvPKT_PiPT1_
                                        ; -- End function
	.section	.AMDGPU.csdata,"",@progbits
; Kernel info:
; codeLenInByte = 232
; NumSgprs: 16
; NumVgprs: 8
; NumAgprs: 0
; TotalNumVgprs: 8
; ScratchSize: 0
; MemoryBound: 0
; FloatMode: 240
; IeeeMode: 1
; LDSByteSize: 512 bytes/workgroup (compile time only)
; SGPRBlocks: 1
; VGPRBlocks: 0
; NumSGPRsForWavesPerEU: 16
; NumVGPRsForWavesPerEU: 8
; AccumOffset: 8
; Occupancy: 8
; WaveLimiterHint : 0
; COMPUTE_PGM_RSRC2:SCRATCH_EN: 0
; COMPUTE_PGM_RSRC2:USER_SGPR: 6
; COMPUTE_PGM_RSRC2:TRAP_HANDLER: 0
; COMPUTE_PGM_RSRC2:TGID_X_EN: 1
; COMPUTE_PGM_RSRC2:TGID_Y_EN: 0
; COMPUTE_PGM_RSRC2:TGID_Z_EN: 0
; COMPUTE_PGM_RSRC2:TIDIG_COMP_CNT: 0
; COMPUTE_PGM_RSRC3_GFX90A:ACCUM_OFFSET: 1
; COMPUTE_PGM_RSRC3_GFX90A:TG_SPLIT: 0
	.section	.text._Z34subtract_right_partial_tile_kernelIhbiN6hipcub3SumELj255ELj1EEvPKT_PiPT1_,"axG",@progbits,_Z34subtract_right_partial_tile_kernelIhbiN6hipcub3SumELj255ELj1EEvPKT_PiPT1_,comdat
	.protected	_Z34subtract_right_partial_tile_kernelIhbiN6hipcub3SumELj255ELj1EEvPKT_PiPT1_ ; -- Begin function _Z34subtract_right_partial_tile_kernelIhbiN6hipcub3SumELj255ELj1EEvPKT_PiPT1_
	.globl	_Z34subtract_right_partial_tile_kernelIhbiN6hipcub3SumELj255ELj1EEvPKT_PiPT1_
	.p2align	8
	.type	_Z34subtract_right_partial_tile_kernelIhbiN6hipcub3SumELj255ELj1EEvPKT_PiPT1_,@function
_Z34subtract_right_partial_tile_kernelIhbiN6hipcub3SumELj255ELj1EEvPKT_PiPT1_: ; @_Z34subtract_right_partial_tile_kernelIhbiN6hipcub3SumELj255ELj1EEvPKT_PiPT1_
; %bb.0:
	s_load_dwordx4 s[8:11], s[4:5], 0x0
	s_load_dwordx2 s[0:1], s[4:5], 0x10
	s_mul_i32 s2, s6, 0xff
	s_mov_b32 s3, 0
	s_mov_b32 s7, s3
	s_waitcnt lgkmcnt(0)
	s_add_u32 s4, s8, s2
	s_addc_u32 s5, s9, 0
	global_load_ubyte v1, v0, s[4:5]
	s_lshl_b64 s[4:5], s[6:7], 2
	s_add_u32 s4, s10, s4
	s_addc_u32 s5, s11, s5
	s_load_dword s4, s[4:5], 0x0
	v_add_u32_e32 v2, 1, v0
	s_waitcnt lgkmcnt(0)
	v_cmp_gt_u32_e32 vcc, s4, v2
	s_waitcnt vmcnt(0)
	ds_write_b8 v0, v1 offset:255
	s_waitcnt lgkmcnt(0)
	s_barrier
	s_and_saveexec_b64 s[4:5], vcc
	s_cbranch_execz .LBB134_2
; %bb.1:
	ds_read_u8 v2, v0 offset:256
	s_waitcnt lgkmcnt(0)
	v_or_b32_e32 v1, v2, v1
.LBB134_2:
	s_or_b64 exec, exec, s[4:5]
	s_lshl_b64 s[2:3], s[2:3], 2
	v_mov_b32_e32 v2, 0
	s_add_u32 s0, s0, s2
	s_addc_u32 s1, s1, s3
	v_cmp_ne_u16_sdwa s[2:3], v1, v2 src0_sel:BYTE_0 src1_sel:DWORD
	v_lshlrev_b32_e32 v0, 2, v0
	v_cndmask_b32_e64 v1, 0, 1, s[2:3]
	global_store_dword v0, v1, s[0:1]
	s_endpgm
	.section	.rodata,"a",@progbits
	.p2align	6, 0x0
	.amdhsa_kernel _Z34subtract_right_partial_tile_kernelIhbiN6hipcub3SumELj255ELj1EEvPKT_PiPT1_
		.amdhsa_group_segment_fixed_size 510
		.amdhsa_private_segment_fixed_size 0
		.amdhsa_kernarg_size 24
		.amdhsa_user_sgpr_count 6
		.amdhsa_user_sgpr_private_segment_buffer 1
		.amdhsa_user_sgpr_dispatch_ptr 0
		.amdhsa_user_sgpr_queue_ptr 0
		.amdhsa_user_sgpr_kernarg_segment_ptr 1
		.amdhsa_user_sgpr_dispatch_id 0
		.amdhsa_user_sgpr_flat_scratch_init 0
		.amdhsa_user_sgpr_kernarg_preload_length 0
		.amdhsa_user_sgpr_kernarg_preload_offset 0
		.amdhsa_user_sgpr_private_segment_size 0
		.amdhsa_uses_dynamic_stack 0
		.amdhsa_system_sgpr_private_segment_wavefront_offset 0
		.amdhsa_system_sgpr_workgroup_id_x 1
		.amdhsa_system_sgpr_workgroup_id_y 0
		.amdhsa_system_sgpr_workgroup_id_z 0
		.amdhsa_system_sgpr_workgroup_info 0
		.amdhsa_system_vgpr_workitem_id 0
		.amdhsa_next_free_vgpr 3
		.amdhsa_next_free_sgpr 12
		.amdhsa_accum_offset 4
		.amdhsa_reserve_vcc 1
		.amdhsa_reserve_flat_scratch 0
		.amdhsa_float_round_mode_32 0
		.amdhsa_float_round_mode_16_64 0
		.amdhsa_float_denorm_mode_32 3
		.amdhsa_float_denorm_mode_16_64 3
		.amdhsa_dx10_clamp 1
		.amdhsa_ieee_mode 1
		.amdhsa_fp16_overflow 0
		.amdhsa_tg_split 0
		.amdhsa_exception_fp_ieee_invalid_op 0
		.amdhsa_exception_fp_denorm_src 0
		.amdhsa_exception_fp_ieee_div_zero 0
		.amdhsa_exception_fp_ieee_overflow 0
		.amdhsa_exception_fp_ieee_underflow 0
		.amdhsa_exception_fp_ieee_inexact 0
		.amdhsa_exception_int_div_zero 0
	.end_amdhsa_kernel
	.section	.text._Z34subtract_right_partial_tile_kernelIhbiN6hipcub3SumELj255ELj1EEvPKT_PiPT1_,"axG",@progbits,_Z34subtract_right_partial_tile_kernelIhbiN6hipcub3SumELj255ELj1EEvPKT_PiPT1_,comdat
.Lfunc_end134:
	.size	_Z34subtract_right_partial_tile_kernelIhbiN6hipcub3SumELj255ELj1EEvPKT_PiPT1_, .Lfunc_end134-_Z34subtract_right_partial_tile_kernelIhbiN6hipcub3SumELj255ELj1EEvPKT_PiPT1_
                                        ; -- End function
	.section	.AMDGPU.csdata,"",@progbits
; Kernel info:
; codeLenInByte = 180
; NumSgprs: 16
; NumVgprs: 3
; NumAgprs: 0
; TotalNumVgprs: 3
; ScratchSize: 0
; MemoryBound: 0
; FloatMode: 240
; IeeeMode: 1
; LDSByteSize: 510 bytes/workgroup (compile time only)
; SGPRBlocks: 1
; VGPRBlocks: 0
; NumSGPRsForWavesPerEU: 16
; NumVGPRsForWavesPerEU: 3
; AccumOffset: 4
; Occupancy: 8
; WaveLimiterHint : 0
; COMPUTE_PGM_RSRC2:SCRATCH_EN: 0
; COMPUTE_PGM_RSRC2:USER_SGPR: 6
; COMPUTE_PGM_RSRC2:TRAP_HANDLER: 0
; COMPUTE_PGM_RSRC2:TGID_X_EN: 1
; COMPUTE_PGM_RSRC2:TGID_Y_EN: 0
; COMPUTE_PGM_RSRC2:TGID_Z_EN: 0
; COMPUTE_PGM_RSRC2:TIDIG_COMP_CNT: 0
; COMPUTE_PGM_RSRC3_GFX90A:ACCUM_OFFSET: 0
; COMPUTE_PGM_RSRC3_GFX90A:TG_SPLIT: 0
	.section	.text._Z34subtract_right_partial_tile_kernelIjxx10custom_op2Lj162ELj1EEvPKT_PiPT1_,"axG",@progbits,_Z34subtract_right_partial_tile_kernelIjxx10custom_op2Lj162ELj1EEvPKT_PiPT1_,comdat
	.protected	_Z34subtract_right_partial_tile_kernelIjxx10custom_op2Lj162ELj1EEvPKT_PiPT1_ ; -- Begin function _Z34subtract_right_partial_tile_kernelIjxx10custom_op2Lj162ELj1EEvPKT_PiPT1_
	.globl	_Z34subtract_right_partial_tile_kernelIjxx10custom_op2Lj162ELj1EEvPKT_PiPT1_
	.p2align	8
	.type	_Z34subtract_right_partial_tile_kernelIjxx10custom_op2Lj162ELj1EEvPKT_PiPT1_,@function
_Z34subtract_right_partial_tile_kernelIjxx10custom_op2Lj162ELj1EEvPKT_PiPT1_: ; @_Z34subtract_right_partial_tile_kernelIjxx10custom_op2Lj162ELj1EEvPKT_PiPT1_
; %bb.0:
	s_load_dwordx4 s[8:11], s[4:5], 0x0
	s_load_dwordx2 s[0:1], s[4:5], 0x10
	s_mul_i32 s2, s6, 0xa2
	s_mov_b32 s3, 0
	s_lshl_b64 s[4:5], s[2:3], 2
	s_waitcnt lgkmcnt(0)
	s_add_u32 s4, s8, s4
	s_addc_u32 s5, s9, s5
	v_lshlrev_b32_e32 v1, 2, v0
	global_load_dword v2, v1, s[4:5]
	s_mov_b32 s7, s3
	s_lshl_b64 s[4:5], s[6:7], 2
	s_add_u32 s4, s10, s4
	s_addc_u32 s5, s11, s5
	s_load_dword s4, s[4:5], 0x0
	v_add_u32_e32 v3, 1, v0
	s_waitcnt lgkmcnt(0)
	v_cmp_gt_u32_e32 vcc, s4, v3
	s_waitcnt vmcnt(0)
	ds_write_b32 v1, v2 offset:648
	s_waitcnt lgkmcnt(0)
	s_barrier
	s_and_saveexec_b64 s[4:5], vcc
	s_cbranch_execz .LBB135_2
; %bb.1:
	ds_read_b32 v1, v1 offset:652
	s_waitcnt lgkmcnt(0)
	v_lshlrev_b32_e32 v1, 1, v1
	v_sub_u32_e32 v2, v1, v2
.LBB135_2:
	s_or_b64 exec, exec, s[4:5]
	s_lshl_b64 s[2:3], s[2:3], 3
	s_add_u32 s0, s0, s2
	v_mov_b32_e32 v3, 0
	s_addc_u32 s1, s1, s3
	v_lshlrev_b32_e32 v0, 3, v0
	global_store_dwordx2 v0, v[2:3], s[0:1]
	s_endpgm
	.section	.rodata,"a",@progbits
	.p2align	6, 0x0
	.amdhsa_kernel _Z34subtract_right_partial_tile_kernelIjxx10custom_op2Lj162ELj1EEvPKT_PiPT1_
		.amdhsa_group_segment_fixed_size 1296
		.amdhsa_private_segment_fixed_size 0
		.amdhsa_kernarg_size 24
		.amdhsa_user_sgpr_count 6
		.amdhsa_user_sgpr_private_segment_buffer 1
		.amdhsa_user_sgpr_dispatch_ptr 0
		.amdhsa_user_sgpr_queue_ptr 0
		.amdhsa_user_sgpr_kernarg_segment_ptr 1
		.amdhsa_user_sgpr_dispatch_id 0
		.amdhsa_user_sgpr_flat_scratch_init 0
		.amdhsa_user_sgpr_kernarg_preload_length 0
		.amdhsa_user_sgpr_kernarg_preload_offset 0
		.amdhsa_user_sgpr_private_segment_size 0
		.amdhsa_uses_dynamic_stack 0
		.amdhsa_system_sgpr_private_segment_wavefront_offset 0
		.amdhsa_system_sgpr_workgroup_id_x 1
		.amdhsa_system_sgpr_workgroup_id_y 0
		.amdhsa_system_sgpr_workgroup_id_z 0
		.amdhsa_system_sgpr_workgroup_info 0
		.amdhsa_system_vgpr_workitem_id 0
		.amdhsa_next_free_vgpr 4
		.amdhsa_next_free_sgpr 12
		.amdhsa_accum_offset 4
		.amdhsa_reserve_vcc 1
		.amdhsa_reserve_flat_scratch 0
		.amdhsa_float_round_mode_32 0
		.amdhsa_float_round_mode_16_64 0
		.amdhsa_float_denorm_mode_32 3
		.amdhsa_float_denorm_mode_16_64 3
		.amdhsa_dx10_clamp 1
		.amdhsa_ieee_mode 1
		.amdhsa_fp16_overflow 0
		.amdhsa_tg_split 0
		.amdhsa_exception_fp_ieee_invalid_op 0
		.amdhsa_exception_fp_denorm_src 0
		.amdhsa_exception_fp_ieee_div_zero 0
		.amdhsa_exception_fp_ieee_overflow 0
		.amdhsa_exception_fp_ieee_underflow 0
		.amdhsa_exception_fp_ieee_inexact 0
		.amdhsa_exception_int_div_zero 0
	.end_amdhsa_kernel
	.section	.text._Z34subtract_right_partial_tile_kernelIjxx10custom_op2Lj162ELj1EEvPKT_PiPT1_,"axG",@progbits,_Z34subtract_right_partial_tile_kernelIjxx10custom_op2Lj162ELj1EEvPKT_PiPT1_,comdat
.Lfunc_end135:
	.size	_Z34subtract_right_partial_tile_kernelIjxx10custom_op2Lj162ELj1EEvPKT_PiPT1_, .Lfunc_end135-_Z34subtract_right_partial_tile_kernelIjxx10custom_op2Lj162ELj1EEvPKT_PiPT1_
                                        ; -- End function
	.section	.AMDGPU.csdata,"",@progbits
; Kernel info:
; codeLenInByte = 176
; NumSgprs: 16
; NumVgprs: 4
; NumAgprs: 0
; TotalNumVgprs: 4
; ScratchSize: 0
; MemoryBound: 0
; FloatMode: 240
; IeeeMode: 1
; LDSByteSize: 1296 bytes/workgroup (compile time only)
; SGPRBlocks: 1
; VGPRBlocks: 0
; NumSGPRsForWavesPerEU: 16
; NumVGPRsForWavesPerEU: 4
; AccumOffset: 4
; Occupancy: 8
; WaveLimiterHint : 0
; COMPUTE_PGM_RSRC2:SCRATCH_EN: 0
; COMPUTE_PGM_RSRC2:USER_SGPR: 6
; COMPUTE_PGM_RSRC2:TRAP_HANDLER: 0
; COMPUTE_PGM_RSRC2:TGID_X_EN: 1
; COMPUTE_PGM_RSRC2:TGID_Y_EN: 0
; COMPUTE_PGM_RSRC2:TGID_Z_EN: 0
; COMPUTE_PGM_RSRC2:TIDIG_COMP_CNT: 0
; COMPUTE_PGM_RSRC3_GFX90A:ACCUM_OFFSET: 0
; COMPUTE_PGM_RSRC3_GFX90A:TG_SPLIT: 0
	.section	.text._Z34subtract_right_partial_tile_kernelIxcc10custom_op1Lj510ELj1EEvPKT_PiPT1_,"axG",@progbits,_Z34subtract_right_partial_tile_kernelIxcc10custom_op1Lj510ELj1EEvPKT_PiPT1_,comdat
	.protected	_Z34subtract_right_partial_tile_kernelIxcc10custom_op1Lj510ELj1EEvPKT_PiPT1_ ; -- Begin function _Z34subtract_right_partial_tile_kernelIxcc10custom_op1Lj510ELj1EEvPKT_PiPT1_
	.globl	_Z34subtract_right_partial_tile_kernelIxcc10custom_op1Lj510ELj1EEvPKT_PiPT1_
	.p2align	8
	.type	_Z34subtract_right_partial_tile_kernelIxcc10custom_op1Lj510ELj1EEvPKT_PiPT1_,@function
_Z34subtract_right_partial_tile_kernelIxcc10custom_op1Lj510ELj1EEvPKT_PiPT1_: ; @_Z34subtract_right_partial_tile_kernelIxcc10custom_op1Lj510ELj1EEvPKT_PiPT1_
; %bb.0:
	s_load_dwordx4 s[8:11], s[4:5], 0x0
	s_load_dwordx2 s[0:1], s[4:5], 0x10
	s_mul_i32 s2, s6, 0x1fe
	s_mov_b32 s3, 0
	s_lshl_b64 s[4:5], s[2:3], 3
	s_waitcnt lgkmcnt(0)
	s_add_u32 s4, s8, s4
	s_addc_u32 s5, s9, s5
	v_lshlrev_b32_e32 v1, 3, v0
	global_load_dwordx2 v[2:3], v1, s[4:5]
	s_mov_b32 s7, s3
	s_lshl_b64 s[4:5], s[6:7], 2
	s_add_u32 s4, s10, s4
	s_addc_u32 s5, s11, s5
	s_load_dword s3, s[4:5], 0x0
	v_add_u32_e32 v4, 1, v0
	s_waitcnt lgkmcnt(0)
	v_cmp_gt_u32_e32 vcc, s3, v4
	s_waitcnt vmcnt(0)
	ds_write_b64 v1, v[2:3] offset:4080
	s_waitcnt lgkmcnt(0)
	s_barrier
	s_and_saveexec_b64 s[4:5], vcc
	s_cbranch_execz .LBB136_2
; %bb.1:
	ds_read_b64 v[4:5], v1 offset:4088
	s_waitcnt lgkmcnt(0)
	v_sub_co_u32_e32 v2, vcc, v2, v4
.LBB136_2:
	s_or_b64 exec, exec, s[4:5]
	s_add_u32 s0, s0, s2
	s_addc_u32 s1, s1, 0
	v_mov_b32_e32 v1, s1
	v_add_co_u32_e32 v0, vcc, s0, v0
	v_addc_co_u32_e32 v1, vcc, 0, v1, vcc
	global_store_byte v[0:1], v2, off
	s_endpgm
	.section	.rodata,"a",@progbits
	.p2align	6, 0x0
	.amdhsa_kernel _Z34subtract_right_partial_tile_kernelIxcc10custom_op1Lj510ELj1EEvPKT_PiPT1_
		.amdhsa_group_segment_fixed_size 8160
		.amdhsa_private_segment_fixed_size 0
		.amdhsa_kernarg_size 24
		.amdhsa_user_sgpr_count 6
		.amdhsa_user_sgpr_private_segment_buffer 1
		.amdhsa_user_sgpr_dispatch_ptr 0
		.amdhsa_user_sgpr_queue_ptr 0
		.amdhsa_user_sgpr_kernarg_segment_ptr 1
		.amdhsa_user_sgpr_dispatch_id 0
		.amdhsa_user_sgpr_flat_scratch_init 0
		.amdhsa_user_sgpr_kernarg_preload_length 0
		.amdhsa_user_sgpr_kernarg_preload_offset 0
		.amdhsa_user_sgpr_private_segment_size 0
		.amdhsa_uses_dynamic_stack 0
		.amdhsa_system_sgpr_private_segment_wavefront_offset 0
		.amdhsa_system_sgpr_workgroup_id_x 1
		.amdhsa_system_sgpr_workgroup_id_y 0
		.amdhsa_system_sgpr_workgroup_id_z 0
		.amdhsa_system_sgpr_workgroup_info 0
		.amdhsa_system_vgpr_workitem_id 0
		.amdhsa_next_free_vgpr 6
		.amdhsa_next_free_sgpr 12
		.amdhsa_accum_offset 8
		.amdhsa_reserve_vcc 1
		.amdhsa_reserve_flat_scratch 0
		.amdhsa_float_round_mode_32 0
		.amdhsa_float_round_mode_16_64 0
		.amdhsa_float_denorm_mode_32 3
		.amdhsa_float_denorm_mode_16_64 3
		.amdhsa_dx10_clamp 1
		.amdhsa_ieee_mode 1
		.amdhsa_fp16_overflow 0
		.amdhsa_tg_split 0
		.amdhsa_exception_fp_ieee_invalid_op 0
		.amdhsa_exception_fp_denorm_src 0
		.amdhsa_exception_fp_ieee_div_zero 0
		.amdhsa_exception_fp_ieee_overflow 0
		.amdhsa_exception_fp_ieee_underflow 0
		.amdhsa_exception_fp_ieee_inexact 0
		.amdhsa_exception_int_div_zero 0
	.end_amdhsa_kernel
	.section	.text._Z34subtract_right_partial_tile_kernelIxcc10custom_op1Lj510ELj1EEvPKT_PiPT1_,"axG",@progbits,_Z34subtract_right_partial_tile_kernelIxcc10custom_op1Lj510ELj1EEvPKT_PiPT1_,comdat
.Lfunc_end136:
	.size	_Z34subtract_right_partial_tile_kernelIxcc10custom_op1Lj510ELj1EEvPKT_PiPT1_, .Lfunc_end136-_Z34subtract_right_partial_tile_kernelIxcc10custom_op1Lj510ELj1EEvPKT_PiPT1_
                                        ; -- End function
	.section	.AMDGPU.csdata,"",@progbits
; Kernel info:
; codeLenInByte = 172
; NumSgprs: 16
; NumVgprs: 6
; NumAgprs: 0
; TotalNumVgprs: 6
; ScratchSize: 0
; MemoryBound: 0
; FloatMode: 240
; IeeeMode: 1
; LDSByteSize: 8160 bytes/workgroup (compile time only)
; SGPRBlocks: 1
; VGPRBlocks: 0
; NumSGPRsForWavesPerEU: 16
; NumVGPRsForWavesPerEU: 6
; AccumOffset: 8
; Occupancy: 8
; WaveLimiterHint : 0
; COMPUTE_PGM_RSRC2:SCRATCH_EN: 0
; COMPUTE_PGM_RSRC2:USER_SGPR: 6
; COMPUTE_PGM_RSRC2:TRAP_HANDLER: 0
; COMPUTE_PGM_RSRC2:TGID_X_EN: 1
; COMPUTE_PGM_RSRC2:TGID_Y_EN: 0
; COMPUTE_PGM_RSRC2:TGID_Z_EN: 0
; COMPUTE_PGM_RSRC2:TIDIG_COMP_CNT: 0
; COMPUTE_PGM_RSRC3_GFX90A:ACCUM_OFFSET: 1
; COMPUTE_PGM_RSRC3_GFX90A:TG_SPLIT: 0
	.section	.text._Z34subtract_right_partial_tile_kernelIfiiN6hipcub3SumELj37ELj1EEvPKT_PiPT1_,"axG",@progbits,_Z34subtract_right_partial_tile_kernelIfiiN6hipcub3SumELj37ELj1EEvPKT_PiPT1_,comdat
	.protected	_Z34subtract_right_partial_tile_kernelIfiiN6hipcub3SumELj37ELj1EEvPKT_PiPT1_ ; -- Begin function _Z34subtract_right_partial_tile_kernelIfiiN6hipcub3SumELj37ELj1EEvPKT_PiPT1_
	.globl	_Z34subtract_right_partial_tile_kernelIfiiN6hipcub3SumELj37ELj1EEvPKT_PiPT1_
	.p2align	8
	.type	_Z34subtract_right_partial_tile_kernelIfiiN6hipcub3SumELj37ELj1EEvPKT_PiPT1_,@function
_Z34subtract_right_partial_tile_kernelIfiiN6hipcub3SumELj37ELj1EEvPKT_PiPT1_: ; @_Z34subtract_right_partial_tile_kernelIfiiN6hipcub3SumELj37ELj1EEvPKT_PiPT1_
; %bb.0:
	s_load_dwordx4 s[8:11], s[4:5], 0x0
	s_load_dwordx2 s[0:1], s[4:5], 0x10
	s_mul_i32 s4, s6, 37
	s_mov_b32 s5, 0
	s_lshl_b64 s[2:3], s[4:5], 2
	s_waitcnt lgkmcnt(0)
	s_add_u32 s8, s8, s2
	s_addc_u32 s9, s9, s3
	v_lshlrev_b32_e32 v1, 2, v0
	global_load_dword v2, v1, s[8:9]
	s_mov_b32 s7, s5
	s_lshl_b64 s[4:5], s[6:7], 2
	s_add_u32 s4, s10, s4
	s_addc_u32 s5, s11, s5
	s_load_dword s4, s[4:5], 0x0
	v_add_u32_e32 v0, 1, v0
	s_waitcnt lgkmcnt(0)
	v_cmp_gt_u32_e32 vcc, s4, v0
	s_waitcnt vmcnt(0)
	ds_write_b32 v1, v2 offset:148
	s_waitcnt lgkmcnt(0)
	; wave barrier
	s_waitcnt lgkmcnt(0)
	s_and_saveexec_b64 s[4:5], vcc
	s_cbranch_execz .LBB137_2
; %bb.1:
	ds_read_b32 v0, v1 offset:152
	s_waitcnt lgkmcnt(0)
	v_add_f32_e32 v2, v2, v0
.LBB137_2:
	s_or_b64 exec, exec, s[4:5]
	v_cvt_i32_f32_e32 v0, v2
	s_add_u32 s0, s0, s2
	s_addc_u32 s1, s1, s3
	global_store_dword v1, v0, s[0:1]
	s_endpgm
	.section	.rodata,"a",@progbits
	.p2align	6, 0x0
	.amdhsa_kernel _Z34subtract_right_partial_tile_kernelIfiiN6hipcub3SumELj37ELj1EEvPKT_PiPT1_
		.amdhsa_group_segment_fixed_size 296
		.amdhsa_private_segment_fixed_size 0
		.amdhsa_kernarg_size 24
		.amdhsa_user_sgpr_count 6
		.amdhsa_user_sgpr_private_segment_buffer 1
		.amdhsa_user_sgpr_dispatch_ptr 0
		.amdhsa_user_sgpr_queue_ptr 0
		.amdhsa_user_sgpr_kernarg_segment_ptr 1
		.amdhsa_user_sgpr_dispatch_id 0
		.amdhsa_user_sgpr_flat_scratch_init 0
		.amdhsa_user_sgpr_kernarg_preload_length 0
		.amdhsa_user_sgpr_kernarg_preload_offset 0
		.amdhsa_user_sgpr_private_segment_size 0
		.amdhsa_uses_dynamic_stack 0
		.amdhsa_system_sgpr_private_segment_wavefront_offset 0
		.amdhsa_system_sgpr_workgroup_id_x 1
		.amdhsa_system_sgpr_workgroup_id_y 0
		.amdhsa_system_sgpr_workgroup_id_z 0
		.amdhsa_system_sgpr_workgroup_info 0
		.amdhsa_system_vgpr_workitem_id 0
		.amdhsa_next_free_vgpr 3
		.amdhsa_next_free_sgpr 12
		.amdhsa_accum_offset 4
		.amdhsa_reserve_vcc 1
		.amdhsa_reserve_flat_scratch 0
		.amdhsa_float_round_mode_32 0
		.amdhsa_float_round_mode_16_64 0
		.amdhsa_float_denorm_mode_32 3
		.amdhsa_float_denorm_mode_16_64 3
		.amdhsa_dx10_clamp 1
		.amdhsa_ieee_mode 1
		.amdhsa_fp16_overflow 0
		.amdhsa_tg_split 0
		.amdhsa_exception_fp_ieee_invalid_op 0
		.amdhsa_exception_fp_denorm_src 0
		.amdhsa_exception_fp_ieee_div_zero 0
		.amdhsa_exception_fp_ieee_overflow 0
		.amdhsa_exception_fp_ieee_underflow 0
		.amdhsa_exception_fp_ieee_inexact 0
		.amdhsa_exception_int_div_zero 0
	.end_amdhsa_kernel
	.section	.text._Z34subtract_right_partial_tile_kernelIfiiN6hipcub3SumELj37ELj1EEvPKT_PiPT1_,"axG",@progbits,_Z34subtract_right_partial_tile_kernelIfiiN6hipcub3SumELj37ELj1EEvPKT_PiPT1_,comdat
.Lfunc_end137:
	.size	_Z34subtract_right_partial_tile_kernelIfiiN6hipcub3SumELj37ELj1EEvPKT_PiPT1_, .Lfunc_end137-_Z34subtract_right_partial_tile_kernelIfiiN6hipcub3SumELj37ELj1EEvPKT_PiPT1_
                                        ; -- End function
	.section	.AMDGPU.csdata,"",@progbits
; Kernel info:
; codeLenInByte = 160
; NumSgprs: 16
; NumVgprs: 3
; NumAgprs: 0
; TotalNumVgprs: 3
; ScratchSize: 0
; MemoryBound: 0
; FloatMode: 240
; IeeeMode: 1
; LDSByteSize: 296 bytes/workgroup (compile time only)
; SGPRBlocks: 1
; VGPRBlocks: 0
; NumSGPRsForWavesPerEU: 16
; NumVGPRsForWavesPerEU: 3
; AccumOffset: 4
; Occupancy: 8
; WaveLimiterHint : 0
; COMPUTE_PGM_RSRC2:SCRATCH_EN: 0
; COMPUTE_PGM_RSRC2:USER_SGPR: 6
; COMPUTE_PGM_RSRC2:TRAP_HANDLER: 0
; COMPUTE_PGM_RSRC2:TGID_X_EN: 1
; COMPUTE_PGM_RSRC2:TGID_Y_EN: 0
; COMPUTE_PGM_RSRC2:TGID_Z_EN: 0
; COMPUTE_PGM_RSRC2:TIDIG_COMP_CNT: 0
; COMPUTE_PGM_RSRC3_GFX90A:ACCUM_OFFSET: 0
; COMPUTE_PGM_RSRC3_GFX90A:TG_SPLIT: 0
	.section	.text._Z34subtract_right_partial_tile_kernelIibi10custom_op1Lj256ELj1EEvPKT_PiPT1_,"axG",@progbits,_Z34subtract_right_partial_tile_kernelIibi10custom_op1Lj256ELj1EEvPKT_PiPT1_,comdat
	.protected	_Z34subtract_right_partial_tile_kernelIibi10custom_op1Lj256ELj1EEvPKT_PiPT1_ ; -- Begin function _Z34subtract_right_partial_tile_kernelIibi10custom_op1Lj256ELj1EEvPKT_PiPT1_
	.globl	_Z34subtract_right_partial_tile_kernelIibi10custom_op1Lj256ELj1EEvPKT_PiPT1_
	.p2align	8
	.type	_Z34subtract_right_partial_tile_kernelIibi10custom_op1Lj256ELj1EEvPKT_PiPT1_,@function
_Z34subtract_right_partial_tile_kernelIibi10custom_op1Lj256ELj1EEvPKT_PiPT1_: ; @_Z34subtract_right_partial_tile_kernelIibi10custom_op1Lj256ELj1EEvPKT_PiPT1_
; %bb.0:
	s_load_dwordx4 s[8:11], s[4:5], 0x0
	s_load_dwordx2 s[0:1], s[4:5], 0x10
	s_lshl_b32 s4, s6, 8
	s_mov_b32 s5, 0
	s_lshl_b64 s[2:3], s[4:5], 2
	s_waitcnt lgkmcnt(0)
	s_add_u32 s8, s8, s2
	s_addc_u32 s9, s9, s3
	v_lshlrev_b32_e32 v1, 2, v0
	global_load_dword v2, v1, s[8:9]
	s_mov_b32 s7, s5
	s_lshl_b64 s[4:5], s[6:7], 2
	s_add_u32 s4, s10, s4
	s_addc_u32 s5, s11, s5
	s_load_dword s4, s[4:5], 0x0
	v_add_u32_e32 v0, 1, v0
	s_waitcnt lgkmcnt(0)
	v_cmp_gt_u32_e32 vcc, s4, v0
	v_mov_b32_e32 v0, 0
	s_waitcnt vmcnt(0)
	ds_write_b32 v1, v2 offset:1024
	s_waitcnt lgkmcnt(0)
	s_barrier
	s_and_saveexec_b64 s[4:5], vcc
	s_cbranch_execz .LBB138_2
; %bb.1:
	ds_read_b32 v0, v1 offset:1028
.LBB138_2:
	s_or_b64 exec, exec, s[4:5]
	s_add_u32 s0, s0, s2
	s_waitcnt lgkmcnt(0)
	v_cmp_ne_u32_e32 vcc, v2, v0
	s_addc_u32 s1, s1, s3
	v_cndmask_b32_e64 v0, 0, 1, vcc
	global_store_dword v1, v0, s[0:1]
	s_endpgm
	.section	.rodata,"a",@progbits
	.p2align	6, 0x0
	.amdhsa_kernel _Z34subtract_right_partial_tile_kernelIibi10custom_op1Lj256ELj1EEvPKT_PiPT1_
		.amdhsa_group_segment_fixed_size 2048
		.amdhsa_private_segment_fixed_size 0
		.amdhsa_kernarg_size 24
		.amdhsa_user_sgpr_count 6
		.amdhsa_user_sgpr_private_segment_buffer 1
		.amdhsa_user_sgpr_dispatch_ptr 0
		.amdhsa_user_sgpr_queue_ptr 0
		.amdhsa_user_sgpr_kernarg_segment_ptr 1
		.amdhsa_user_sgpr_dispatch_id 0
		.amdhsa_user_sgpr_flat_scratch_init 0
		.amdhsa_user_sgpr_kernarg_preload_length 0
		.amdhsa_user_sgpr_kernarg_preload_offset 0
		.amdhsa_user_sgpr_private_segment_size 0
		.amdhsa_uses_dynamic_stack 0
		.amdhsa_system_sgpr_private_segment_wavefront_offset 0
		.amdhsa_system_sgpr_workgroup_id_x 1
		.amdhsa_system_sgpr_workgroup_id_y 0
		.amdhsa_system_sgpr_workgroup_id_z 0
		.amdhsa_system_sgpr_workgroup_info 0
		.amdhsa_system_vgpr_workitem_id 0
		.amdhsa_next_free_vgpr 3
		.amdhsa_next_free_sgpr 12
		.amdhsa_accum_offset 4
		.amdhsa_reserve_vcc 1
		.amdhsa_reserve_flat_scratch 0
		.amdhsa_float_round_mode_32 0
		.amdhsa_float_round_mode_16_64 0
		.amdhsa_float_denorm_mode_32 3
		.amdhsa_float_denorm_mode_16_64 3
		.amdhsa_dx10_clamp 1
		.amdhsa_ieee_mode 1
		.amdhsa_fp16_overflow 0
		.amdhsa_tg_split 0
		.amdhsa_exception_fp_ieee_invalid_op 0
		.amdhsa_exception_fp_denorm_src 0
		.amdhsa_exception_fp_ieee_div_zero 0
		.amdhsa_exception_fp_ieee_overflow 0
		.amdhsa_exception_fp_ieee_underflow 0
		.amdhsa_exception_fp_ieee_inexact 0
		.amdhsa_exception_int_div_zero 0
	.end_amdhsa_kernel
	.section	.text._Z34subtract_right_partial_tile_kernelIibi10custom_op1Lj256ELj1EEvPKT_PiPT1_,"axG",@progbits,_Z34subtract_right_partial_tile_kernelIibi10custom_op1Lj256ELj1EEvPKT_PiPT1_,comdat
.Lfunc_end138:
	.size	_Z34subtract_right_partial_tile_kernelIibi10custom_op1Lj256ELj1EEvPKT_PiPT1_, .Lfunc_end138-_Z34subtract_right_partial_tile_kernelIibi10custom_op1Lj256ELj1EEvPKT_PiPT1_
                                        ; -- End function
	.section	.AMDGPU.csdata,"",@progbits
; Kernel info:
; codeLenInByte = 168
; NumSgprs: 16
; NumVgprs: 3
; NumAgprs: 0
; TotalNumVgprs: 3
; ScratchSize: 0
; MemoryBound: 0
; FloatMode: 240
; IeeeMode: 1
; LDSByteSize: 2048 bytes/workgroup (compile time only)
; SGPRBlocks: 1
; VGPRBlocks: 0
; NumSGPRsForWavesPerEU: 16
; NumVGPRsForWavesPerEU: 3
; AccumOffset: 4
; Occupancy: 8
; WaveLimiterHint : 0
; COMPUTE_PGM_RSRC2:SCRATCH_EN: 0
; COMPUTE_PGM_RSRC2:USER_SGPR: 6
; COMPUTE_PGM_RSRC2:TRAP_HANDLER: 0
; COMPUTE_PGM_RSRC2:TGID_X_EN: 1
; COMPUTE_PGM_RSRC2:TGID_Y_EN: 0
; COMPUTE_PGM_RSRC2:TGID_Z_EN: 0
; COMPUTE_PGM_RSRC2:TIDIG_COMP_CNT: 0
; COMPUTE_PGM_RSRC3_GFX90A:ACCUM_OFFSET: 0
; COMPUTE_PGM_RSRC3_GFX90A:TG_SPLIT: 0
	.section	.text._Z34subtract_right_partial_tile_kernelI12hip_bfloat16ii10custom_op2Lj256ELj1EEvPKT_PiPT1_,"axG",@progbits,_Z34subtract_right_partial_tile_kernelI12hip_bfloat16ii10custom_op2Lj256ELj1EEvPKT_PiPT1_,comdat
	.protected	_Z34subtract_right_partial_tile_kernelI12hip_bfloat16ii10custom_op2Lj256ELj1EEvPKT_PiPT1_ ; -- Begin function _Z34subtract_right_partial_tile_kernelI12hip_bfloat16ii10custom_op2Lj256ELj1EEvPKT_PiPT1_
	.globl	_Z34subtract_right_partial_tile_kernelI12hip_bfloat16ii10custom_op2Lj256ELj1EEvPKT_PiPT1_
	.p2align	8
	.type	_Z34subtract_right_partial_tile_kernelI12hip_bfloat16ii10custom_op2Lj256ELj1EEvPKT_PiPT1_,@function
_Z34subtract_right_partial_tile_kernelI12hip_bfloat16ii10custom_op2Lj256ELj1EEvPKT_PiPT1_: ; @_Z34subtract_right_partial_tile_kernelI12hip_bfloat16ii10custom_op2Lj256ELj1EEvPKT_PiPT1_
; %bb.0:
	s_load_dwordx4 s[8:11], s[4:5], 0x0
	s_load_dwordx2 s[0:1], s[4:5], 0x10
	s_lshl_b32 s2, s6, 8
	s_mov_b32 s3, 0
	s_lshl_b64 s[4:5], s[2:3], 1
	s_waitcnt lgkmcnt(0)
	s_add_u32 s4, s8, s4
	s_addc_u32 s5, s9, s5
	v_lshlrev_b32_e32 v2, 1, v0
	global_load_ushort v1, v2, s[4:5]
	s_mov_b32 s7, s3
	s_lshl_b64 s[4:5], s[6:7], 2
	s_add_u32 s4, s10, s4
	s_addc_u32 s5, s11, s5
	s_load_dword s4, s[4:5], 0x0
	v_add_u32_e32 v3, 1, v0
	s_waitcnt lgkmcnt(0)
	v_cmp_gt_u32_e32 vcc, s4, v3
	s_waitcnt vmcnt(0)
	ds_write_b16 v2, v1 offset:512
	v_lshlrev_b32_e32 v1, 16, v1
	s_waitcnt lgkmcnt(0)
	s_barrier
	s_and_saveexec_b64 s[4:5], vcc
	s_cbranch_execz .LBB139_10
; %bb.1:
	ds_read_u16 v2, v2 offset:514
	s_mov_b32 s6, 0x7f800000
	s_waitcnt lgkmcnt(0)
	v_lshlrev_b32_e32 v2, 16, v2
	v_add_f32_e32 v2, v2, v2
	v_and_b32_e32 v3, 0x7f800000, v2
	v_cmp_ne_u32_e32 vcc, s6, v3
                                        ; implicit-def: $vgpr3
	s_and_saveexec_b64 s[6:7], vcc
	s_xor_b64 s[6:7], exec, s[6:7]
; %bb.2:
	v_bfe_u32 v3, v2, 16, 1
	s_movk_i32 s8, 0x7fff
	v_add3_u32 v3, v2, v3, s8
                                        ; implicit-def: $vgpr2
; %bb.3:
	s_andn2_saveexec_b64 s[6:7], s[6:7]
; %bb.4:
	v_mov_b32_e32 v3, 0
	v_or_b32_e32 v4, 0x10000, v2
	v_cmp_eq_u32_sdwa vcc, v2, v3 src0_sel:WORD_0 src1_sel:DWORD
	v_cndmask_b32_e32 v3, v4, v2, vcc
; %bb.5:
	s_or_b64 exec, exec, s[6:7]
	v_and_b32_e32 v2, 0xffff0000, v3
	v_sub_f32_e32 v1, v2, v1
	s_mov_b32 s6, 0x7f800000
	v_and_b32_e32 v2, 0x7f800000, v1
	v_cmp_ne_u32_e32 vcc, s6, v2
                                        ; implicit-def: $vgpr2
	s_and_saveexec_b64 s[6:7], vcc
	s_xor_b64 s[6:7], exec, s[6:7]
; %bb.6:
	v_bfe_u32 v2, v1, 16, 1
	s_movk_i32 s8, 0x7fff
	v_add3_u32 v2, v1, v2, s8
                                        ; implicit-def: $vgpr1
; %bb.7:
	s_andn2_saveexec_b64 s[6:7], s[6:7]
; %bb.8:
	v_mov_b32_e32 v2, 0
	v_or_b32_e32 v3, 0x10000, v1
	v_cmp_eq_u32_sdwa vcc, v1, v2 src0_sel:WORD_0 src1_sel:DWORD
	v_cndmask_b32_e32 v2, v3, v1, vcc
; %bb.9:
	s_or_b64 exec, exec, s[6:7]
	v_and_b32_e32 v1, 0xffff0000, v2
.LBB139_10:
	s_or_b64 exec, exec, s[4:5]
	v_cvt_i32_f32_e32 v1, v1
	s_lshl_b64 s[2:3], s[2:3], 2
	s_add_u32 s0, s0, s2
	s_addc_u32 s1, s1, s3
	v_lshlrev_b32_e32 v0, 2, v0
	global_store_dword v0, v1, s[0:1]
	s_endpgm
	.section	.rodata,"a",@progbits
	.p2align	6, 0x0
	.amdhsa_kernel _Z34subtract_right_partial_tile_kernelI12hip_bfloat16ii10custom_op2Lj256ELj1EEvPKT_PiPT1_
		.amdhsa_group_segment_fixed_size 1024
		.amdhsa_private_segment_fixed_size 0
		.amdhsa_kernarg_size 24
		.amdhsa_user_sgpr_count 6
		.amdhsa_user_sgpr_private_segment_buffer 1
		.amdhsa_user_sgpr_dispatch_ptr 0
		.amdhsa_user_sgpr_queue_ptr 0
		.amdhsa_user_sgpr_kernarg_segment_ptr 1
		.amdhsa_user_sgpr_dispatch_id 0
		.amdhsa_user_sgpr_flat_scratch_init 0
		.amdhsa_user_sgpr_kernarg_preload_length 0
		.amdhsa_user_sgpr_kernarg_preload_offset 0
		.amdhsa_user_sgpr_private_segment_size 0
		.amdhsa_uses_dynamic_stack 0
		.amdhsa_system_sgpr_private_segment_wavefront_offset 0
		.amdhsa_system_sgpr_workgroup_id_x 1
		.amdhsa_system_sgpr_workgroup_id_y 0
		.amdhsa_system_sgpr_workgroup_id_z 0
		.amdhsa_system_sgpr_workgroup_info 0
		.amdhsa_system_vgpr_workitem_id 0
		.amdhsa_next_free_vgpr 5
		.amdhsa_next_free_sgpr 12
		.amdhsa_accum_offset 8
		.amdhsa_reserve_vcc 1
		.amdhsa_reserve_flat_scratch 0
		.amdhsa_float_round_mode_32 0
		.amdhsa_float_round_mode_16_64 0
		.amdhsa_float_denorm_mode_32 3
		.amdhsa_float_denorm_mode_16_64 3
		.amdhsa_dx10_clamp 1
		.amdhsa_ieee_mode 1
		.amdhsa_fp16_overflow 0
		.amdhsa_tg_split 0
		.amdhsa_exception_fp_ieee_invalid_op 0
		.amdhsa_exception_fp_denorm_src 0
		.amdhsa_exception_fp_ieee_div_zero 0
		.amdhsa_exception_fp_ieee_overflow 0
		.amdhsa_exception_fp_ieee_underflow 0
		.amdhsa_exception_fp_ieee_inexact 0
		.amdhsa_exception_int_div_zero 0
	.end_amdhsa_kernel
	.section	.text._Z34subtract_right_partial_tile_kernelI12hip_bfloat16ii10custom_op2Lj256ELj1EEvPKT_PiPT1_,"axG",@progbits,_Z34subtract_right_partial_tile_kernelI12hip_bfloat16ii10custom_op2Lj256ELj1EEvPKT_PiPT1_,comdat
.Lfunc_end139:
	.size	_Z34subtract_right_partial_tile_kernelI12hip_bfloat16ii10custom_op2Lj256ELj1EEvPKT_PiPT1_, .Lfunc_end139-_Z34subtract_right_partial_tile_kernelI12hip_bfloat16ii10custom_op2Lj256ELj1EEvPKT_PiPT1_
                                        ; -- End function
	.section	.AMDGPU.csdata,"",@progbits
; Kernel info:
; codeLenInByte = 356
; NumSgprs: 16
; NumVgprs: 5
; NumAgprs: 0
; TotalNumVgprs: 5
; ScratchSize: 0
; MemoryBound: 0
; FloatMode: 240
; IeeeMode: 1
; LDSByteSize: 1024 bytes/workgroup (compile time only)
; SGPRBlocks: 1
; VGPRBlocks: 0
; NumSGPRsForWavesPerEU: 16
; NumVGPRsForWavesPerEU: 5
; AccumOffset: 8
; Occupancy: 8
; WaveLimiterHint : 0
; COMPUTE_PGM_RSRC2:SCRATCH_EN: 0
; COMPUTE_PGM_RSRC2:USER_SGPR: 6
; COMPUTE_PGM_RSRC2:TRAP_HANDLER: 0
; COMPUTE_PGM_RSRC2:TGID_X_EN: 1
; COMPUTE_PGM_RSRC2:TGID_Y_EN: 0
; COMPUTE_PGM_RSRC2:TGID_Z_EN: 0
; COMPUTE_PGM_RSRC2:TIDIG_COMP_CNT: 0
; COMPUTE_PGM_RSRC3_GFX90A:ACCUM_OFFSET: 1
; COMPUTE_PGM_RSRC3_GFX90A:TG_SPLIT: 0
	.section	.text._Z34subtract_right_partial_tile_kernelI6__halfii10custom_op1Lj256ELj1EEvPKT_PiPT1_,"axG",@progbits,_Z34subtract_right_partial_tile_kernelI6__halfii10custom_op1Lj256ELj1EEvPKT_PiPT1_,comdat
	.protected	_Z34subtract_right_partial_tile_kernelI6__halfii10custom_op1Lj256ELj1EEvPKT_PiPT1_ ; -- Begin function _Z34subtract_right_partial_tile_kernelI6__halfii10custom_op1Lj256ELj1EEvPKT_PiPT1_
	.globl	_Z34subtract_right_partial_tile_kernelI6__halfii10custom_op1Lj256ELj1EEvPKT_PiPT1_
	.p2align	8
	.type	_Z34subtract_right_partial_tile_kernelI6__halfii10custom_op1Lj256ELj1EEvPKT_PiPT1_,@function
_Z34subtract_right_partial_tile_kernelI6__halfii10custom_op1Lj256ELj1EEvPKT_PiPT1_: ; @_Z34subtract_right_partial_tile_kernelI6__halfii10custom_op1Lj256ELj1EEvPKT_PiPT1_
; %bb.0:
	s_load_dwordx4 s[8:11], s[4:5], 0x0
	s_load_dwordx2 s[0:1], s[4:5], 0x10
	s_lshl_b32 s2, s6, 8
	s_mov_b32 s3, 0
	s_lshl_b64 s[4:5], s[2:3], 1
	s_waitcnt lgkmcnt(0)
	s_add_u32 s4, s8, s4
	s_addc_u32 s5, s9, s5
	v_lshlrev_b32_e32 v2, 1, v0
	global_load_ushort v1, v2, s[4:5]
	s_mov_b32 s7, s3
	s_lshl_b64 s[4:5], s[6:7], 2
	s_add_u32 s4, s10, s4
	s_addc_u32 s5, s11, s5
	s_load_dword s4, s[4:5], 0x0
	v_add_u32_e32 v3, 1, v0
	s_waitcnt lgkmcnt(0)
	v_cmp_gt_u32_e32 vcc, s4, v3
	s_waitcnt vmcnt(0)
	ds_write_b16 v2, v1 offset:512
	s_waitcnt lgkmcnt(0)
	s_barrier
	s_and_saveexec_b64 s[4:5], vcc
	s_cbranch_execz .LBB140_2
; %bb.1:
	ds_read_u16 v2, v2 offset:514
	s_waitcnt lgkmcnt(0)
	v_sub_f16_e32 v1, v1, v2
.LBB140_2:
	s_or_b64 exec, exec, s[4:5]
	v_cvt_f32_f16_e32 v1, v1
	s_lshl_b64 s[2:3], s[2:3], 2
	s_add_u32 s0, s0, s2
	s_addc_u32 s1, s1, s3
	v_cvt_i32_f32_e32 v1, v1
	v_lshlrev_b32_e32 v0, 2, v0
	global_store_dword v0, v1, s[0:1]
	s_endpgm
	.section	.rodata,"a",@progbits
	.p2align	6, 0x0
	.amdhsa_kernel _Z34subtract_right_partial_tile_kernelI6__halfii10custom_op1Lj256ELj1EEvPKT_PiPT1_
		.amdhsa_group_segment_fixed_size 1024
		.amdhsa_private_segment_fixed_size 0
		.amdhsa_kernarg_size 24
		.amdhsa_user_sgpr_count 6
		.amdhsa_user_sgpr_private_segment_buffer 1
		.amdhsa_user_sgpr_dispatch_ptr 0
		.amdhsa_user_sgpr_queue_ptr 0
		.amdhsa_user_sgpr_kernarg_segment_ptr 1
		.amdhsa_user_sgpr_dispatch_id 0
		.amdhsa_user_sgpr_flat_scratch_init 0
		.amdhsa_user_sgpr_kernarg_preload_length 0
		.amdhsa_user_sgpr_kernarg_preload_offset 0
		.amdhsa_user_sgpr_private_segment_size 0
		.amdhsa_uses_dynamic_stack 0
		.amdhsa_system_sgpr_private_segment_wavefront_offset 0
		.amdhsa_system_sgpr_workgroup_id_x 1
		.amdhsa_system_sgpr_workgroup_id_y 0
		.amdhsa_system_sgpr_workgroup_id_z 0
		.amdhsa_system_sgpr_workgroup_info 0
		.amdhsa_system_vgpr_workitem_id 0
		.amdhsa_next_free_vgpr 4
		.amdhsa_next_free_sgpr 12
		.amdhsa_accum_offset 4
		.amdhsa_reserve_vcc 1
		.amdhsa_reserve_flat_scratch 0
		.amdhsa_float_round_mode_32 0
		.amdhsa_float_round_mode_16_64 0
		.amdhsa_float_denorm_mode_32 3
		.amdhsa_float_denorm_mode_16_64 3
		.amdhsa_dx10_clamp 1
		.amdhsa_ieee_mode 1
		.amdhsa_fp16_overflow 0
		.amdhsa_tg_split 0
		.amdhsa_exception_fp_ieee_invalid_op 0
		.amdhsa_exception_fp_denorm_src 0
		.amdhsa_exception_fp_ieee_div_zero 0
		.amdhsa_exception_fp_ieee_overflow 0
		.amdhsa_exception_fp_ieee_underflow 0
		.amdhsa_exception_fp_ieee_inexact 0
		.amdhsa_exception_int_div_zero 0
	.end_amdhsa_kernel
	.section	.text._Z34subtract_right_partial_tile_kernelI6__halfii10custom_op1Lj256ELj1EEvPKT_PiPT1_,"axG",@progbits,_Z34subtract_right_partial_tile_kernelI6__halfii10custom_op1Lj256ELj1EEvPKT_PiPT1_,comdat
.Lfunc_end140:
	.size	_Z34subtract_right_partial_tile_kernelI6__halfii10custom_op1Lj256ELj1EEvPKT_PiPT1_, .Lfunc_end140-_Z34subtract_right_partial_tile_kernelI6__halfii10custom_op1Lj256ELj1EEvPKT_PiPT1_
                                        ; -- End function
	.section	.AMDGPU.csdata,"",@progbits
; Kernel info:
; codeLenInByte = 172
; NumSgprs: 16
; NumVgprs: 4
; NumAgprs: 0
; TotalNumVgprs: 4
; ScratchSize: 0
; MemoryBound: 0
; FloatMode: 240
; IeeeMode: 1
; LDSByteSize: 1024 bytes/workgroup (compile time only)
; SGPRBlocks: 1
; VGPRBlocks: 0
; NumSGPRsForWavesPerEU: 16
; NumVGPRsForWavesPerEU: 4
; AccumOffset: 4
; Occupancy: 8
; WaveLimiterHint : 0
; COMPUTE_PGM_RSRC2:SCRATCH_EN: 0
; COMPUTE_PGM_RSRC2:USER_SGPR: 6
; COMPUTE_PGM_RSRC2:TRAP_HANDLER: 0
; COMPUTE_PGM_RSRC2:TGID_X_EN: 1
; COMPUTE_PGM_RSRC2:TGID_Y_EN: 0
; COMPUTE_PGM_RSRC2:TGID_Z_EN: 0
; COMPUTE_PGM_RSRC2:TIDIG_COMP_CNT: 0
; COMPUTE_PGM_RSRC3_GFX90A:ACCUM_OFFSET: 0
; COMPUTE_PGM_RSRC3_GFX90A:TG_SPLIT: 0
	.section	.text._Z34subtract_right_partial_tile_kernelIfii10custom_op2Lj256ELj1EEvPKT_PiPT1_,"axG",@progbits,_Z34subtract_right_partial_tile_kernelIfii10custom_op2Lj256ELj1EEvPKT_PiPT1_,comdat
	.protected	_Z34subtract_right_partial_tile_kernelIfii10custom_op2Lj256ELj1EEvPKT_PiPT1_ ; -- Begin function _Z34subtract_right_partial_tile_kernelIfii10custom_op2Lj256ELj1EEvPKT_PiPT1_
	.globl	_Z34subtract_right_partial_tile_kernelIfii10custom_op2Lj256ELj1EEvPKT_PiPT1_
	.p2align	8
	.type	_Z34subtract_right_partial_tile_kernelIfii10custom_op2Lj256ELj1EEvPKT_PiPT1_,@function
_Z34subtract_right_partial_tile_kernelIfii10custom_op2Lj256ELj1EEvPKT_PiPT1_: ; @_Z34subtract_right_partial_tile_kernelIfii10custom_op2Lj256ELj1EEvPKT_PiPT1_
; %bb.0:
	s_load_dwordx4 s[8:11], s[4:5], 0x0
	s_load_dwordx2 s[0:1], s[4:5], 0x10
	s_lshl_b32 s4, s6, 8
	s_mov_b32 s5, 0
	s_lshl_b64 s[2:3], s[4:5], 2
	s_waitcnt lgkmcnt(0)
	s_add_u32 s8, s8, s2
	s_addc_u32 s9, s9, s3
	v_lshlrev_b32_e32 v1, 2, v0
	global_load_dword v2, v1, s[8:9]
	s_mov_b32 s7, s5
	s_lshl_b64 s[4:5], s[6:7], 2
	s_add_u32 s4, s10, s4
	s_addc_u32 s5, s11, s5
	s_load_dword s4, s[4:5], 0x0
	v_add_u32_e32 v0, 1, v0
	s_waitcnt lgkmcnt(0)
	v_cmp_gt_u32_e32 vcc, s4, v0
	s_waitcnt vmcnt(0)
	ds_write_b32 v1, v2 offset:1024
	s_waitcnt lgkmcnt(0)
	s_barrier
	s_and_saveexec_b64 s[4:5], vcc
	s_cbranch_execz .LBB141_2
; %bb.1:
	ds_read_b32 v0, v1 offset:1028
	s_waitcnt lgkmcnt(0)
	v_fma_f32 v2, v0, 2.0, -v2
.LBB141_2:
	s_or_b64 exec, exec, s[4:5]
	v_cvt_i32_f32_e32 v0, v2
	s_add_u32 s0, s0, s2
	s_addc_u32 s1, s1, s3
	global_store_dword v1, v0, s[0:1]
	s_endpgm
	.section	.rodata,"a",@progbits
	.p2align	6, 0x0
	.amdhsa_kernel _Z34subtract_right_partial_tile_kernelIfii10custom_op2Lj256ELj1EEvPKT_PiPT1_
		.amdhsa_group_segment_fixed_size 2048
		.amdhsa_private_segment_fixed_size 0
		.amdhsa_kernarg_size 24
		.amdhsa_user_sgpr_count 6
		.amdhsa_user_sgpr_private_segment_buffer 1
		.amdhsa_user_sgpr_dispatch_ptr 0
		.amdhsa_user_sgpr_queue_ptr 0
		.amdhsa_user_sgpr_kernarg_segment_ptr 1
		.amdhsa_user_sgpr_dispatch_id 0
		.amdhsa_user_sgpr_flat_scratch_init 0
		.amdhsa_user_sgpr_kernarg_preload_length 0
		.amdhsa_user_sgpr_kernarg_preload_offset 0
		.amdhsa_user_sgpr_private_segment_size 0
		.amdhsa_uses_dynamic_stack 0
		.amdhsa_system_sgpr_private_segment_wavefront_offset 0
		.amdhsa_system_sgpr_workgroup_id_x 1
		.amdhsa_system_sgpr_workgroup_id_y 0
		.amdhsa_system_sgpr_workgroup_id_z 0
		.amdhsa_system_sgpr_workgroup_info 0
		.amdhsa_system_vgpr_workitem_id 0
		.amdhsa_next_free_vgpr 3
		.amdhsa_next_free_sgpr 12
		.amdhsa_accum_offset 4
		.amdhsa_reserve_vcc 1
		.amdhsa_reserve_flat_scratch 0
		.amdhsa_float_round_mode_32 0
		.amdhsa_float_round_mode_16_64 0
		.amdhsa_float_denorm_mode_32 3
		.amdhsa_float_denorm_mode_16_64 3
		.amdhsa_dx10_clamp 1
		.amdhsa_ieee_mode 1
		.amdhsa_fp16_overflow 0
		.amdhsa_tg_split 0
		.amdhsa_exception_fp_ieee_invalid_op 0
		.amdhsa_exception_fp_denorm_src 0
		.amdhsa_exception_fp_ieee_div_zero 0
		.amdhsa_exception_fp_ieee_overflow 0
		.amdhsa_exception_fp_ieee_underflow 0
		.amdhsa_exception_fp_ieee_inexact 0
		.amdhsa_exception_int_div_zero 0
	.end_amdhsa_kernel
	.section	.text._Z34subtract_right_partial_tile_kernelIfii10custom_op2Lj256ELj1EEvPKT_PiPT1_,"axG",@progbits,_Z34subtract_right_partial_tile_kernelIfii10custom_op2Lj256ELj1EEvPKT_PiPT1_,comdat
.Lfunc_end141:
	.size	_Z34subtract_right_partial_tile_kernelIfii10custom_op2Lj256ELj1EEvPKT_PiPT1_, .Lfunc_end141-_Z34subtract_right_partial_tile_kernelIfii10custom_op2Lj256ELj1EEvPKT_PiPT1_
                                        ; -- End function
	.section	.AMDGPU.csdata,"",@progbits
; Kernel info:
; codeLenInByte = 164
; NumSgprs: 16
; NumVgprs: 3
; NumAgprs: 0
; TotalNumVgprs: 3
; ScratchSize: 0
; MemoryBound: 0
; FloatMode: 240
; IeeeMode: 1
; LDSByteSize: 2048 bytes/workgroup (compile time only)
; SGPRBlocks: 1
; VGPRBlocks: 0
; NumSGPRsForWavesPerEU: 16
; NumVGPRsForWavesPerEU: 3
; AccumOffset: 4
; Occupancy: 8
; WaveLimiterHint : 0
; COMPUTE_PGM_RSRC2:SCRATCH_EN: 0
; COMPUTE_PGM_RSRC2:USER_SGPR: 6
; COMPUTE_PGM_RSRC2:TRAP_HANDLER: 0
; COMPUTE_PGM_RSRC2:TGID_X_EN: 1
; COMPUTE_PGM_RSRC2:TGID_Y_EN: 0
; COMPUTE_PGM_RSRC2:TGID_Z_EN: 0
; COMPUTE_PGM_RSRC2:TIDIG_COMP_CNT: 0
; COMPUTE_PGM_RSRC3_GFX90A:ACCUM_OFFSET: 0
; COMPUTE_PGM_RSRC3_GFX90A:TG_SPLIT: 0
	.section	.text._Z34subtract_right_partial_tile_kernelIibi10custom_op1Lj128ELj1EEvPKT_PiPT1_,"axG",@progbits,_Z34subtract_right_partial_tile_kernelIibi10custom_op1Lj128ELj1EEvPKT_PiPT1_,comdat
	.protected	_Z34subtract_right_partial_tile_kernelIibi10custom_op1Lj128ELj1EEvPKT_PiPT1_ ; -- Begin function _Z34subtract_right_partial_tile_kernelIibi10custom_op1Lj128ELj1EEvPKT_PiPT1_
	.globl	_Z34subtract_right_partial_tile_kernelIibi10custom_op1Lj128ELj1EEvPKT_PiPT1_
	.p2align	8
	.type	_Z34subtract_right_partial_tile_kernelIibi10custom_op1Lj128ELj1EEvPKT_PiPT1_,@function
_Z34subtract_right_partial_tile_kernelIibi10custom_op1Lj128ELj1EEvPKT_PiPT1_: ; @_Z34subtract_right_partial_tile_kernelIibi10custom_op1Lj128ELj1EEvPKT_PiPT1_
; %bb.0:
	s_load_dwordx4 s[8:11], s[4:5], 0x0
	s_load_dwordx2 s[0:1], s[4:5], 0x10
	s_lshl_b32 s4, s6, 7
	s_mov_b32 s5, 0
	s_lshl_b64 s[2:3], s[4:5], 2
	s_waitcnt lgkmcnt(0)
	s_add_u32 s8, s8, s2
	s_addc_u32 s9, s9, s3
	v_lshlrev_b32_e32 v1, 2, v0
	global_load_dword v2, v1, s[8:9]
	s_mov_b32 s7, s5
	s_lshl_b64 s[4:5], s[6:7], 2
	s_add_u32 s4, s10, s4
	s_addc_u32 s5, s11, s5
	s_load_dword s4, s[4:5], 0x0
	v_add_u32_e32 v0, 1, v0
	s_waitcnt lgkmcnt(0)
	v_cmp_gt_u32_e32 vcc, s4, v0
	v_mov_b32_e32 v0, 0
	s_waitcnt vmcnt(0)
	ds_write_b32 v1, v2 offset:512
	s_waitcnt lgkmcnt(0)
	s_barrier
	s_and_saveexec_b64 s[4:5], vcc
	s_cbranch_execz .LBB142_2
; %bb.1:
	ds_read_b32 v0, v1 offset:516
.LBB142_2:
	s_or_b64 exec, exec, s[4:5]
	s_add_u32 s0, s0, s2
	s_waitcnt lgkmcnt(0)
	v_cmp_ne_u32_e32 vcc, v2, v0
	s_addc_u32 s1, s1, s3
	v_cndmask_b32_e64 v0, 0, 1, vcc
	global_store_dword v1, v0, s[0:1]
	s_endpgm
	.section	.rodata,"a",@progbits
	.p2align	6, 0x0
	.amdhsa_kernel _Z34subtract_right_partial_tile_kernelIibi10custom_op1Lj128ELj1EEvPKT_PiPT1_
		.amdhsa_group_segment_fixed_size 1024
		.amdhsa_private_segment_fixed_size 0
		.amdhsa_kernarg_size 24
		.amdhsa_user_sgpr_count 6
		.amdhsa_user_sgpr_private_segment_buffer 1
		.amdhsa_user_sgpr_dispatch_ptr 0
		.amdhsa_user_sgpr_queue_ptr 0
		.amdhsa_user_sgpr_kernarg_segment_ptr 1
		.amdhsa_user_sgpr_dispatch_id 0
		.amdhsa_user_sgpr_flat_scratch_init 0
		.amdhsa_user_sgpr_kernarg_preload_length 0
		.amdhsa_user_sgpr_kernarg_preload_offset 0
		.amdhsa_user_sgpr_private_segment_size 0
		.amdhsa_uses_dynamic_stack 0
		.amdhsa_system_sgpr_private_segment_wavefront_offset 0
		.amdhsa_system_sgpr_workgroup_id_x 1
		.amdhsa_system_sgpr_workgroup_id_y 0
		.amdhsa_system_sgpr_workgroup_id_z 0
		.amdhsa_system_sgpr_workgroup_info 0
		.amdhsa_system_vgpr_workitem_id 0
		.amdhsa_next_free_vgpr 3
		.amdhsa_next_free_sgpr 12
		.amdhsa_accum_offset 4
		.amdhsa_reserve_vcc 1
		.amdhsa_reserve_flat_scratch 0
		.amdhsa_float_round_mode_32 0
		.amdhsa_float_round_mode_16_64 0
		.amdhsa_float_denorm_mode_32 3
		.amdhsa_float_denorm_mode_16_64 3
		.amdhsa_dx10_clamp 1
		.amdhsa_ieee_mode 1
		.amdhsa_fp16_overflow 0
		.amdhsa_tg_split 0
		.amdhsa_exception_fp_ieee_invalid_op 0
		.amdhsa_exception_fp_denorm_src 0
		.amdhsa_exception_fp_ieee_div_zero 0
		.amdhsa_exception_fp_ieee_overflow 0
		.amdhsa_exception_fp_ieee_underflow 0
		.amdhsa_exception_fp_ieee_inexact 0
		.amdhsa_exception_int_div_zero 0
	.end_amdhsa_kernel
	.section	.text._Z34subtract_right_partial_tile_kernelIibi10custom_op1Lj128ELj1EEvPKT_PiPT1_,"axG",@progbits,_Z34subtract_right_partial_tile_kernelIibi10custom_op1Lj128ELj1EEvPKT_PiPT1_,comdat
.Lfunc_end142:
	.size	_Z34subtract_right_partial_tile_kernelIibi10custom_op1Lj128ELj1EEvPKT_PiPT1_, .Lfunc_end142-_Z34subtract_right_partial_tile_kernelIibi10custom_op1Lj128ELj1EEvPKT_PiPT1_
                                        ; -- End function
	.section	.AMDGPU.csdata,"",@progbits
; Kernel info:
; codeLenInByte = 168
; NumSgprs: 16
; NumVgprs: 3
; NumAgprs: 0
; TotalNumVgprs: 3
; ScratchSize: 0
; MemoryBound: 0
; FloatMode: 240
; IeeeMode: 1
; LDSByteSize: 1024 bytes/workgroup (compile time only)
; SGPRBlocks: 1
; VGPRBlocks: 0
; NumSGPRsForWavesPerEU: 16
; NumVGPRsForWavesPerEU: 3
; AccumOffset: 4
; Occupancy: 8
; WaveLimiterHint : 0
; COMPUTE_PGM_RSRC2:SCRATCH_EN: 0
; COMPUTE_PGM_RSRC2:USER_SGPR: 6
; COMPUTE_PGM_RSRC2:TRAP_HANDLER: 0
; COMPUTE_PGM_RSRC2:TGID_X_EN: 1
; COMPUTE_PGM_RSRC2:TGID_Y_EN: 0
; COMPUTE_PGM_RSRC2:TGID_Z_EN: 0
; COMPUTE_PGM_RSRC2:TIDIG_COMP_CNT: 0
; COMPUTE_PGM_RSRC3_GFX90A:ACCUM_OFFSET: 0
; COMPUTE_PGM_RSRC3_GFX90A:TG_SPLIT: 0
	.section	.text._Z34subtract_right_partial_tile_kernelIjiiN6hipcub3SumELj64ELj1EEvPKT_PiPT1_,"axG",@progbits,_Z34subtract_right_partial_tile_kernelIjiiN6hipcub3SumELj64ELj1EEvPKT_PiPT1_,comdat
	.protected	_Z34subtract_right_partial_tile_kernelIjiiN6hipcub3SumELj64ELj1EEvPKT_PiPT1_ ; -- Begin function _Z34subtract_right_partial_tile_kernelIjiiN6hipcub3SumELj64ELj1EEvPKT_PiPT1_
	.globl	_Z34subtract_right_partial_tile_kernelIjiiN6hipcub3SumELj64ELj1EEvPKT_PiPT1_
	.p2align	8
	.type	_Z34subtract_right_partial_tile_kernelIjiiN6hipcub3SumELj64ELj1EEvPKT_PiPT1_,@function
_Z34subtract_right_partial_tile_kernelIjiiN6hipcub3SumELj64ELj1EEvPKT_PiPT1_: ; @_Z34subtract_right_partial_tile_kernelIjiiN6hipcub3SumELj64ELj1EEvPKT_PiPT1_
; %bb.0:
	s_load_dwordx4 s[8:11], s[4:5], 0x0
	s_load_dwordx2 s[0:1], s[4:5], 0x10
	s_lshl_b32 s4, s6, 6
	s_mov_b32 s5, 0
	s_lshl_b64 s[2:3], s[4:5], 2
	s_waitcnt lgkmcnt(0)
	s_add_u32 s8, s8, s2
	s_addc_u32 s9, s9, s3
	v_lshlrev_b32_e32 v1, 2, v0
	global_load_dword v2, v1, s[8:9]
	s_mov_b32 s7, s5
	s_lshl_b64 s[4:5], s[6:7], 2
	s_add_u32 s4, s10, s4
	s_addc_u32 s5, s11, s5
	s_load_dword s4, s[4:5], 0x0
	v_add_u32_e32 v0, 1, v0
	s_waitcnt lgkmcnt(0)
	v_cmp_gt_u32_e32 vcc, s4, v0
	s_waitcnt vmcnt(0)
	ds_write_b32 v1, v2 offset:256
	s_waitcnt lgkmcnt(0)
	; wave barrier
	s_waitcnt lgkmcnt(0)
	s_and_saveexec_b64 s[4:5], vcc
	s_cbranch_execz .LBB143_2
; %bb.1:
	ds_read_b32 v0, v1 offset:260
	s_waitcnt lgkmcnt(0)
	v_add_u32_e32 v2, v0, v2
.LBB143_2:
	s_or_b64 exec, exec, s[4:5]
	s_add_u32 s0, s0, s2
	s_addc_u32 s1, s1, s3
	global_store_dword v1, v2, s[0:1]
	s_endpgm
	.section	.rodata,"a",@progbits
	.p2align	6, 0x0
	.amdhsa_kernel _Z34subtract_right_partial_tile_kernelIjiiN6hipcub3SumELj64ELj1EEvPKT_PiPT1_
		.amdhsa_group_segment_fixed_size 512
		.amdhsa_private_segment_fixed_size 0
		.amdhsa_kernarg_size 24
		.amdhsa_user_sgpr_count 6
		.amdhsa_user_sgpr_private_segment_buffer 1
		.amdhsa_user_sgpr_dispatch_ptr 0
		.amdhsa_user_sgpr_queue_ptr 0
		.amdhsa_user_sgpr_kernarg_segment_ptr 1
		.amdhsa_user_sgpr_dispatch_id 0
		.amdhsa_user_sgpr_flat_scratch_init 0
		.amdhsa_user_sgpr_kernarg_preload_length 0
		.amdhsa_user_sgpr_kernarg_preload_offset 0
		.amdhsa_user_sgpr_private_segment_size 0
		.amdhsa_uses_dynamic_stack 0
		.amdhsa_system_sgpr_private_segment_wavefront_offset 0
		.amdhsa_system_sgpr_workgroup_id_x 1
		.amdhsa_system_sgpr_workgroup_id_y 0
		.amdhsa_system_sgpr_workgroup_id_z 0
		.amdhsa_system_sgpr_workgroup_info 0
		.amdhsa_system_vgpr_workitem_id 0
		.amdhsa_next_free_vgpr 3
		.amdhsa_next_free_sgpr 12
		.amdhsa_accum_offset 4
		.amdhsa_reserve_vcc 1
		.amdhsa_reserve_flat_scratch 0
		.amdhsa_float_round_mode_32 0
		.amdhsa_float_round_mode_16_64 0
		.amdhsa_float_denorm_mode_32 3
		.amdhsa_float_denorm_mode_16_64 3
		.amdhsa_dx10_clamp 1
		.amdhsa_ieee_mode 1
		.amdhsa_fp16_overflow 0
		.amdhsa_tg_split 0
		.amdhsa_exception_fp_ieee_invalid_op 0
		.amdhsa_exception_fp_denorm_src 0
		.amdhsa_exception_fp_ieee_div_zero 0
		.amdhsa_exception_fp_ieee_overflow 0
		.amdhsa_exception_fp_ieee_underflow 0
		.amdhsa_exception_fp_ieee_inexact 0
		.amdhsa_exception_int_div_zero 0
	.end_amdhsa_kernel
	.section	.text._Z34subtract_right_partial_tile_kernelIjiiN6hipcub3SumELj64ELj1EEvPKT_PiPT1_,"axG",@progbits,_Z34subtract_right_partial_tile_kernelIjiiN6hipcub3SumELj64ELj1EEvPKT_PiPT1_,comdat
.Lfunc_end143:
	.size	_Z34subtract_right_partial_tile_kernelIjiiN6hipcub3SumELj64ELj1EEvPKT_PiPT1_, .Lfunc_end143-_Z34subtract_right_partial_tile_kernelIjiiN6hipcub3SumELj64ELj1EEvPKT_PiPT1_
                                        ; -- End function
	.section	.AMDGPU.csdata,"",@progbits
; Kernel info:
; codeLenInByte = 156
; NumSgprs: 16
; NumVgprs: 3
; NumAgprs: 0
; TotalNumVgprs: 3
; ScratchSize: 0
; MemoryBound: 0
; FloatMode: 240
; IeeeMode: 1
; LDSByteSize: 512 bytes/workgroup (compile time only)
; SGPRBlocks: 1
; VGPRBlocks: 0
; NumSGPRsForWavesPerEU: 16
; NumVGPRsForWavesPerEU: 3
; AccumOffset: 4
; Occupancy: 8
; WaveLimiterHint : 0
; COMPUTE_PGM_RSRC2:SCRATCH_EN: 0
; COMPUTE_PGM_RSRC2:USER_SGPR: 6
; COMPUTE_PGM_RSRC2:TRAP_HANDLER: 0
; COMPUTE_PGM_RSRC2:TGID_X_EN: 1
; COMPUTE_PGM_RSRC2:TGID_Y_EN: 0
; COMPUTE_PGM_RSRC2:TGID_Z_EN: 0
; COMPUTE_PGM_RSRC2:TIDIG_COMP_CNT: 0
; COMPUTE_PGM_RSRC3_GFX90A:ACCUM_OFFSET: 0
; COMPUTE_PGM_RSRC3_GFX90A:TG_SPLIT: 0
	.text
	.p2alignl 6, 3212836864
	.fill 256, 4, 3212836864
	.type	__hip_cuid_f0b3a5fd3bca90c2,@object ; @__hip_cuid_f0b3a5fd3bca90c2
	.section	.bss,"aw",@nobits
	.globl	__hip_cuid_f0b3a5fd3bca90c2
__hip_cuid_f0b3a5fd3bca90c2:
	.byte	0                               ; 0x0
	.size	__hip_cuid_f0b3a5fd3bca90c2, 1

	.ident	"AMD clang version 19.0.0git (https://github.com/RadeonOpenCompute/llvm-project roc-6.4.0 25133 c7fe45cf4b819c5991fe208aaa96edf142730f1d)"
	.section	".note.GNU-stack","",@progbits
	.addrsig
	.addrsig_sym __hip_cuid_f0b3a5fd3bca90c2
	.amdgpu_metadata
---
amdhsa.kernels:
  - .agpr_count:     0
    .args:
      - .address_space:  global
        .offset:         0
        .size:           8
        .value_kind:     global_buffer
      - .address_space:  global
        .offset:         8
        .size:           8
        .value_kind:     global_buffer
    .group_segment_fixed_size: 936
    .kernarg_segment_align: 8
    .kernarg_segment_size: 16
    .language:       OpenCL C
    .language_version:
      - 2
      - 0
    .max_flat_workgroup_size: 234
    .name:           _Z17flag_heads_kernelIsb15custom_flag_op1IsELj234ELj9EEvPT_Px
    .private_segment_fixed_size: 0
    .sgpr_count:     28
    .sgpr_spill_count: 0
    .symbol:         _Z17flag_heads_kernelIsb15custom_flag_op1IsELj234ELj9EEvPT_Px.kd
    .uniform_work_group_size: 1
    .uses_dynamic_stack: false
    .vgpr_count:     17
    .vgpr_spill_count: 0
    .wavefront_size: 64
  - .agpr_count:     0
    .args:
      - .address_space:  global
        .offset:         0
        .size:           8
        .value_kind:     global_buffer
      - .address_space:  global
        .offset:         8
        .size:           8
        .value_kind:     global_buffer
    .group_segment_fixed_size: 400
    .kernarg_segment_align: 8
    .kernarg_segment_size: 16
    .language:       OpenCL C
    .language_version:
      - 2
      - 0
    .max_flat_workgroup_size: 100
    .name:           _Z17flag_heads_kernelItiN10test_utils7greaterELj100ELj3EEvPT_Px
    .private_segment_fixed_size: 0
    .sgpr_count:     14
    .sgpr_spill_count: 0
    .symbol:         _Z17flag_heads_kernelItiN10test_utils7greaterELj100ELj3EEvPT_Px.kd
    .uniform_work_group_size: 1
    .uses_dynamic_stack: false
    .vgpr_count:     8
    .vgpr_spill_count: 0
    .wavefront_size: 64
  - .agpr_count:     0
    .args:
      - .address_space:  global
        .offset:         0
        .size:           8
        .value_kind:     global_buffer
      - .address_space:  global
        .offset:         8
        .size:           8
        .value_kind:     global_buffer
    .group_segment_fixed_size: 148
    .kernarg_segment_align: 8
    .kernarg_segment_size: 16
    .language:       OpenCL C
    .language_version:
      - 2
      - 0
    .max_flat_workgroup_size: 37
    .name:           _Z17flag_heads_kernelI12hip_bfloat16iN10test_utils7greaterELj37ELj3EEvPT_Px
    .private_segment_fixed_size: 0
    .sgpr_count:     14
    .sgpr_spill_count: 0
    .symbol:         _Z17flag_heads_kernelI12hip_bfloat16iN10test_utils7greaterELj37ELj3EEvPT_Px.kd
    .uniform_work_group_size: 1
    .uses_dynamic_stack: false
    .vgpr_count:     9
    .vgpr_spill_count: 0
    .wavefront_size: 64
  - .agpr_count:     0
    .args:
      - .address_space:  global
        .offset:         0
        .size:           8
        .value_kind:     global_buffer
      - .address_space:  global
        .offset:         8
        .size:           8
        .value_kind:     global_buffer
    .group_segment_fixed_size: 148
    .kernarg_segment_align: 8
    .kernarg_segment_size: 16
    .language:       OpenCL C
    .language_version:
      - 2
      - 0
    .max_flat_workgroup_size: 37
    .name:           _Z17flag_heads_kernelI6__halfiN10test_utils7greaterELj37ELj5EEvPT_Px
    .private_segment_fixed_size: 0
    .sgpr_count:     20
    .sgpr_spill_count: 0
    .symbol:         _Z17flag_heads_kernelI6__halfiN10test_utils7greaterELj37ELj5EEvPT_Px.kd
    .uniform_work_group_size: 1
    .uses_dynamic_stack: false
    .vgpr_count:     12
    .vgpr_spill_count: 0
    .wavefront_size: 64
  - .agpr_count:     0
    .args:
      - .address_space:  global
        .offset:         0
        .size:           8
        .value_kind:     global_buffer
      - .address_space:  global
        .offset:         8
        .size:           8
        .value_kind:     global_buffer
    .group_segment_fixed_size: 7424
    .kernarg_segment_align: 8
    .kernarg_segment_size: 16
    .language:       OpenCL C
    .language_version:
      - 2
      - 0
    .max_flat_workgroup_size: 464
    .name:           _Z17flag_heads_kernelIdjN6hipcub8EqualityELj464ELj2EEvPT_Px
    .private_segment_fixed_size: 0
    .sgpr_count:     16
    .sgpr_spill_count: 0
    .symbol:         _Z17flag_heads_kernelIdjN6hipcub8EqualityELj464ELj2EEvPT_Px.kd
    .uniform_work_group_size: 1
    .uses_dynamic_stack: false
    .vgpr_count:     10
    .vgpr_spill_count: 0
    .wavefront_size: 64
  - .agpr_count:     0
    .args:
      - .address_space:  global
        .offset:         0
        .size:           8
        .value_kind:     global_buffer
      - .address_space:  global
        .offset:         8
        .size:           8
        .value_kind:     global_buffer
    .group_segment_fixed_size: 528
    .kernarg_segment_align: 8
    .kernarg_segment_size: 16
    .language:       OpenCL C
    .language_version:
      - 2
      - 0
    .max_flat_workgroup_size: 33
    .name:           _Z17flag_heads_kernelIdi15custom_flag_op2IdELj33ELj5EEvPT_Px
    .private_segment_fixed_size: 0
    .sgpr_count:     16
    .sgpr_spill_count: 0
    .symbol:         _Z17flag_heads_kernelIdi15custom_flag_op2IdELj33ELj5EEvPT_Px.kd
    .uniform_work_group_size: 1
    .uses_dynamic_stack: false
    .vgpr_count:     22
    .vgpr_spill_count: 0
    .wavefront_size: 64
  - .agpr_count:     0
    .args:
      - .address_space:  global
        .offset:         0
        .size:           8
        .value_kind:     global_buffer
      - .address_space:  global
        .offset:         8
        .size:           8
        .value_kind:     global_buffer
    .group_segment_fixed_size: 2048
    .kernarg_segment_align: 8
    .kernarg_segment_size: 16
    .language:       OpenCL C
    .language_version:
      - 2
      - 0
    .max_flat_workgroup_size: 512
    .name:           _Z17flag_heads_kernelIssN6hipcub8EqualityELj512ELj8EEvPT_Px
    .private_segment_fixed_size: 0
    .sgpr_count:     14
    .sgpr_spill_count: 0
    .symbol:         _Z17flag_heads_kernelIssN6hipcub8EqualityELj512ELj8EEvPT_Px.kd
    .uniform_work_group_size: 1
    .uses_dynamic_stack: false
    .vgpr_count:     17
    .vgpr_spill_count: 0
    .wavefront_size: 64
  - .agpr_count:     0
    .args:
      - .address_space:  global
        .offset:         0
        .size:           8
        .value_kind:     global_buffer
      - .address_space:  global
        .offset:         8
        .size:           8
        .value_kind:     global_buffer
    .group_segment_fixed_size: 1024
    .kernarg_segment_align: 8
    .kernarg_segment_size: 16
    .language:       OpenCL C
    .language_version:
      - 2
      - 0
    .max_flat_workgroup_size: 256
    .name:           _Z17flag_heads_kernelIth15custom_flag_op2ItELj256ELj7EEvPT_Px
    .private_segment_fixed_size: 0
    .sgpr_count:     14
    .sgpr_spill_count: 0
    .symbol:         _Z17flag_heads_kernelIth15custom_flag_op2ItELj256ELj7EEvPT_Px.kd
    .uniform_work_group_size: 1
    .uses_dynamic_stack: false
    .vgpr_count:     14
    .vgpr_spill_count: 0
    .wavefront_size: 64
  - .agpr_count:     0
    .args:
      - .address_space:  global
        .offset:         0
        .size:           8
        .value_kind:     global_buffer
      - .address_space:  global
        .offset:         8
        .size:           8
        .value_kind:     global_buffer
    .group_segment_fixed_size: 1024
    .kernarg_segment_align: 8
    .kernarg_segment_size: 16
    .language:       OpenCL C
    .language_version:
      - 2
      - 0
    .max_flat_workgroup_size: 128
    .name:           _Z17flag_heads_kernelIisN10test_utils4lessELj128ELj4EEvPT_Px
    .private_segment_fixed_size: 0
    .sgpr_count:     14
    .sgpr_spill_count: 0
    .symbol:         _Z17flag_heads_kernelIisN10test_utils4lessELj128ELj4EEvPT_Px.kd
    .uniform_work_group_size: 1
    .uses_dynamic_stack: false
    .vgpr_count:     10
    .vgpr_spill_count: 0
    .wavefront_size: 64
  - .agpr_count:     0
    .args:
      - .address_space:  global
        .offset:         0
        .size:           8
        .value_kind:     global_buffer
      - .address_space:  global
        .offset:         8
        .size:           8
        .value_kind:     global_buffer
    .group_segment_fixed_size: 512
    .kernarg_segment_align: 8
    .kernarg_segment_size: 16
    .language:       OpenCL C
    .language_version:
      - 2
      - 0
    .max_flat_workgroup_size: 64
    .name:           _Z17flag_heads_kernelIic15custom_flag_op2IiELj64ELj2EEvPT_Px
    .private_segment_fixed_size: 0
    .sgpr_count:     14
    .sgpr_spill_count: 0
    .symbol:         _Z17flag_heads_kernelIic15custom_flag_op2IiELj64ELj2EEvPT_Px.kd
    .uniform_work_group_size: 1
    .uses_dynamic_stack: false
    .vgpr_count:     7
    .vgpr_spill_count: 0
    .wavefront_size: 64
  - .agpr_count:     0
    .args:
      - .address_space:  global
        .offset:         0
        .size:           8
        .value_kind:     global_buffer
      - .address_space:  global
        .offset:         8
        .size:           8
        .value_kind:     global_buffer
    .group_segment_fixed_size: 510
    .kernarg_segment_align: 8
    .kernarg_segment_size: 16
    .language:       OpenCL C
    .language_version:
      - 2
      - 0
    .max_flat_workgroup_size: 255
    .name:           _Z17flag_heads_kernelIhbN6hipcub8EqualityELj255ELj1EEvPT_Px
    .private_segment_fixed_size: 0
    .sgpr_count:     14
    .sgpr_spill_count: 0
    .symbol:         _Z17flag_heads_kernelIhbN6hipcub8EqualityELj255ELj1EEvPT_Px.kd
    .uniform_work_group_size: 1
    .uses_dynamic_stack: false
    .vgpr_count:     3
    .vgpr_spill_count: 0
    .wavefront_size: 64
  - .agpr_count:     0
    .args:
      - .address_space:  global
        .offset:         0
        .size:           8
        .value_kind:     global_buffer
      - .address_space:  global
        .offset:         8
        .size:           8
        .value_kind:     global_buffer
    .group_segment_fixed_size: 1296
    .kernarg_segment_align: 8
    .kernarg_segment_size: 16
    .language:       OpenCL C
    .language_version:
      - 2
      - 0
    .max_flat_workgroup_size: 162
    .name:           _Z17flag_heads_kernelIjxN6hipcub10InequalityELj162ELj1EEvPT_Px
    .private_segment_fixed_size: 0
    .sgpr_count:     14
    .sgpr_spill_count: 0
    .symbol:         _Z17flag_heads_kernelIjxN6hipcub10InequalityELj162ELj1EEvPT_Px.kd
    .uniform_work_group_size: 1
    .uses_dynamic_stack: false
    .vgpr_count:     4
    .vgpr_spill_count: 0
    .wavefront_size: 64
  - .agpr_count:     0
    .args:
      - .address_space:  global
        .offset:         0
        .size:           8
        .value_kind:     global_buffer
      - .address_space:  global
        .offset:         8
        .size:           8
        .value_kind:     global_buffer
    .group_segment_fixed_size: 8160
    .kernarg_segment_align: 8
    .kernarg_segment_size: 16
    .language:       OpenCL C
    .language_version:
      - 2
      - 0
    .max_flat_workgroup_size: 510
    .name:           _Z17flag_heads_kernelIxcN10test_utils13greater_equalELj510ELj1EEvPT_Px
    .private_segment_fixed_size: 0
    .sgpr_count:     16
    .sgpr_spill_count: 0
    .symbol:         _Z17flag_heads_kernelIxcN10test_utils13greater_equalELj510ELj1EEvPT_Px.kd
    .uniform_work_group_size: 1
    .uses_dynamic_stack: false
    .vgpr_count:     6
    .vgpr_spill_count: 0
    .wavefront_size: 64
  - .agpr_count:     0
    .args:
      - .address_space:  global
        .offset:         0
        .size:           8
        .value_kind:     global_buffer
      - .address_space:  global
        .offset:         8
        .size:           8
        .value_kind:     global_buffer
    .group_segment_fixed_size: 148
    .kernarg_segment_align: 8
    .kernarg_segment_size: 16
    .language:       OpenCL C
    .language_version:
      - 2
      - 0
    .max_flat_workgroup_size: 37
    .name:           _Z17flag_heads_kernelI12hip_bfloat16iN10test_utils7greaterELj37ELj1EEvPT_Px
    .private_segment_fixed_size: 0
    .sgpr_count:     14
    .sgpr_spill_count: 0
    .symbol:         _Z17flag_heads_kernelI12hip_bfloat16iN10test_utils7greaterELj37ELj1EEvPT_Px.kd
    .uniform_work_group_size: 1
    .uses_dynamic_stack: false
    .vgpr_count:     5
    .vgpr_spill_count: 0
    .wavefront_size: 64
  - .agpr_count:     0
    .args:
      - .address_space:  global
        .offset:         0
        .size:           8
        .value_kind:     global_buffer
      - .address_space:  global
        .offset:         8
        .size:           8
        .value_kind:     global_buffer
    .group_segment_fixed_size: 148
    .kernarg_segment_align: 8
    .kernarg_segment_size: 16
    .language:       OpenCL C
    .language_version:
      - 2
      - 0
    .max_flat_workgroup_size: 37
    .name:           _Z17flag_heads_kernelI6__halfiN10test_utils7greaterELj37ELj1EEvPT_Px
    .private_segment_fixed_size: 0
    .sgpr_count:     14
    .sgpr_spill_count: 0
    .symbol:         _Z17flag_heads_kernelI6__halfiN10test_utils7greaterELj37ELj1EEvPT_Px.kd
    .uniform_work_group_size: 1
    .uses_dynamic_stack: false
    .vgpr_count:     4
    .vgpr_spill_count: 0
    .wavefront_size: 64
  - .agpr_count:     0
    .args:
      - .address_space:  global
        .offset:         0
        .size:           8
        .value_kind:     global_buffer
      - .address_space:  global
        .offset:         8
        .size:           8
        .value_kind:     global_buffer
    .group_segment_fixed_size: 296
    .kernarg_segment_align: 8
    .kernarg_segment_size: 16
    .language:       OpenCL C
    .language_version:
      - 2
      - 0
    .max_flat_workgroup_size: 37
    .name:           _Z17flag_heads_kernelIfi15custom_flag_op1IfELj37ELj1EEvPT_Px
    .private_segment_fixed_size: 0
    .sgpr_count:     14
    .sgpr_spill_count: 0
    .symbol:         _Z17flag_heads_kernelIfi15custom_flag_op1IfELj37ELj1EEvPT_Px.kd
    .uniform_work_group_size: 1
    .uses_dynamic_stack: false
    .vgpr_count:     5
    .vgpr_spill_count: 0
    .wavefront_size: 64
  - .agpr_count:     0
    .args:
      - .address_space:  global
        .offset:         0
        .size:           8
        .value_kind:     global_buffer
      - .address_space:  global
        .offset:         8
        .size:           8
        .value_kind:     global_buffer
    .group_segment_fixed_size: 1040
    .kernarg_segment_align: 8
    .kernarg_segment_size: 16
    .language:       OpenCL C
    .language_version:
      - 2
      - 0
    .max_flat_workgroup_size: 65
    .name:           _Z17flag_heads_kernelIdjN10test_utils7greaterELj65ELj1EEvPT_Px
    .private_segment_fixed_size: 0
    .sgpr_count:     16
    .sgpr_spill_count: 0
    .symbol:         _Z17flag_heads_kernelIdjN10test_utils7greaterELj65ELj1EEvPT_Px.kd
    .uniform_work_group_size: 1
    .uses_dynamic_stack: false
    .vgpr_count:     6
    .vgpr_spill_count: 0
    .wavefront_size: 64
  - .agpr_count:     0
    .args:
      - .address_space:  global
        .offset:         0
        .size:           8
        .value_kind:     global_buffer
      - .address_space:  global
        .offset:         8
        .size:           8
        .value_kind:     global_buffer
    .group_segment_fixed_size: 2048
    .kernarg_segment_align: 8
    .kernarg_segment_size: 16
    .language:       OpenCL C
    .language_version:
      - 2
      - 0
    .max_flat_workgroup_size: 256
    .name:           _Z17flag_heads_kernelIib15custom_flag_op1IiELj256ELj1EEvPT_Px
    .private_segment_fixed_size: 0
    .sgpr_count:     14
    .sgpr_spill_count: 0
    .symbol:         _Z17flag_heads_kernelIib15custom_flag_op1IiELj256ELj1EEvPT_Px.kd
    .uniform_work_group_size: 1
    .uses_dynamic_stack: false
    .vgpr_count:     5
    .vgpr_spill_count: 0
    .wavefront_size: 64
  - .agpr_count:     0
    .args:
      - .address_space:  global
        .offset:         0
        .size:           8
        .value_kind:     global_buffer
      - .address_space:  global
        .offset:         8
        .size:           8
        .value_kind:     global_buffer
    .group_segment_fixed_size: 2048
    .kernarg_segment_align: 8
    .kernarg_segment_size: 16
    .language:       OpenCL C
    .language_version:
      - 2
      - 0
    .max_flat_workgroup_size: 1024
    .name:           _Z17flag_heads_kernelIccN10test_utils10less_equalELj1024ELj1EEvPT_Px
    .private_segment_fixed_size: 0
    .sgpr_count:     14
    .sgpr_spill_count: 0
    .symbol:         _Z17flag_heads_kernelIccN10test_utils10less_equalELj1024ELj1EEvPT_Px.kd
    .uniform_work_group_size: 1
    .uses_dynamic_stack: false
    .vgpr_count:     3
    .vgpr_spill_count: 0
    .wavefront_size: 64
  - .agpr_count:     0
    .args:
      - .address_space:  global
        .offset:         0
        .size:           8
        .value_kind:     global_buffer
      - .address_space:  global
        .offset:         8
        .size:           8
        .value_kind:     global_buffer
    .group_segment_fixed_size: 1024
    .kernarg_segment_align: 8
    .kernarg_segment_size: 16
    .language:       OpenCL C
    .language_version:
      - 2
      - 0
    .max_flat_workgroup_size: 256
    .name:           _Z17flag_heads_kernelI12hip_bfloat16iN10test_utils4lessELj256ELj1EEvPT_Px
    .private_segment_fixed_size: 0
    .sgpr_count:     14
    .sgpr_spill_count: 0
    .symbol:         _Z17flag_heads_kernelI12hip_bfloat16iN10test_utils4lessELj256ELj1EEvPT_Px.kd
    .uniform_work_group_size: 1
    .uses_dynamic_stack: false
    .vgpr_count:     5
    .vgpr_spill_count: 0
    .wavefront_size: 64
  - .agpr_count:     0
    .args:
      - .address_space:  global
        .offset:         0
        .size:           8
        .value_kind:     global_buffer
      - .address_space:  global
        .offset:         8
        .size:           8
        .value_kind:     global_buffer
    .group_segment_fixed_size: 1024
    .kernarg_segment_align: 8
    .kernarg_segment_size: 16
    .language:       OpenCL C
    .language_version:
      - 2
      - 0
    .max_flat_workgroup_size: 256
    .name:           _Z17flag_heads_kernelI6__halfiN10test_utils4lessELj256ELj1EEvPT_Px
    .private_segment_fixed_size: 0
    .sgpr_count:     14
    .sgpr_spill_count: 0
    .symbol:         _Z17flag_heads_kernelI6__halfiN10test_utils4lessELj256ELj1EEvPT_Px.kd
    .uniform_work_group_size: 1
    .uses_dynamic_stack: false
    .vgpr_count:     4
    .vgpr_spill_count: 0
    .wavefront_size: 64
  - .agpr_count:     0
    .args:
      - .address_space:  global
        .offset:         0
        .size:           8
        .value_kind:     global_buffer
      - .address_space:  global
        .offset:         8
        .size:           8
        .value_kind:     global_buffer
    .group_segment_fixed_size: 2048
    .kernarg_segment_align: 8
    .kernarg_segment_size: 16
    .language:       OpenCL C
    .language_version:
      - 2
      - 0
    .max_flat_workgroup_size: 256
    .name:           _Z17flag_heads_kernelIfiN10test_utils4lessELj256ELj1EEvPT_Px
    .private_segment_fixed_size: 0
    .sgpr_count:     14
    .sgpr_spill_count: 0
    .symbol:         _Z17flag_heads_kernelIfiN10test_utils4lessELj256ELj1EEvPT_Px.kd
    .uniform_work_group_size: 1
    .uses_dynamic_stack: false
    .vgpr_count:     4
    .vgpr_spill_count: 0
    .wavefront_size: 64
  - .agpr_count:     0
    .args:
      - .address_space:  global
        .offset:         0
        .size:           8
        .value_kind:     global_buffer
      - .address_space:  global
        .offset:         8
        .size:           8
        .value_kind:     global_buffer
    .group_segment_fixed_size: 1024
    .kernarg_segment_align: 8
    .kernarg_segment_size: 16
    .language:       OpenCL C
    .language_version:
      - 2
      - 0
    .max_flat_workgroup_size: 128
    .name:           _Z17flag_heads_kernelIibN6hipcub10InequalityELj128ELj1EEvPT_Px
    .private_segment_fixed_size: 0
    .sgpr_count:     14
    .sgpr_spill_count: 0
    .symbol:         _Z17flag_heads_kernelIibN6hipcub10InequalityELj128ELj1EEvPT_Px.kd
    .uniform_work_group_size: 1
    .uses_dynamic_stack: false
    .vgpr_count:     4
    .vgpr_spill_count: 0
    .wavefront_size: 64
  - .agpr_count:     0
    .args:
      - .address_space:  global
        .offset:         0
        .size:           8
        .value_kind:     global_buffer
      - .address_space:  global
        .offset:         8
        .size:           8
        .value_kind:     global_buffer
    .group_segment_fixed_size: 512
    .kernarg_segment_align: 8
    .kernarg_segment_size: 16
    .language:       OpenCL C
    .language_version:
      - 2
      - 0
    .max_flat_workgroup_size: 64
    .name:           _Z17flag_heads_kernelIjiN6hipcub8EqualityELj64ELj1EEvPT_Px
    .private_segment_fixed_size: 0
    .sgpr_count:     14
    .sgpr_spill_count: 0
    .symbol:         _Z17flag_heads_kernelIjiN6hipcub8EqualityELj64ELj1EEvPT_Px.kd
    .uniform_work_group_size: 1
    .uses_dynamic_stack: false
    .vgpr_count:     4
    .vgpr_spill_count: 0
    .wavefront_size: 64
  - .agpr_count:     0
    .args:
      - .address_space:  global
        .offset:         0
        .size:           8
        .value_kind:     global_buffer
      - .address_space:  global
        .offset:         8
        .size:           8
        .value_kind:     global_buffer
    .group_segment_fixed_size: 936
    .kernarg_segment_align: 8
    .kernarg_segment_size: 16
    .language:       OpenCL C
    .language_version:
      - 2
      - 0
    .max_flat_workgroup_size: 234
    .name:           _Z17flag_tails_kernelIsb15custom_flag_op1IsELj234ELj9EEvPT_Px
    .private_segment_fixed_size: 0
    .sgpr_count:     30
    .sgpr_spill_count: 0
    .symbol:         _Z17flag_tails_kernelIsb15custom_flag_op1IsELj234ELj9EEvPT_Px.kd
    .uniform_work_group_size: 1
    .uses_dynamic_stack: false
    .vgpr_count:     16
    .vgpr_spill_count: 0
    .wavefront_size: 64
  - .agpr_count:     0
    .args:
      - .address_space:  global
        .offset:         0
        .size:           8
        .value_kind:     global_buffer
      - .address_space:  global
        .offset:         8
        .size:           8
        .value_kind:     global_buffer
    .group_segment_fixed_size: 400
    .kernarg_segment_align: 8
    .kernarg_segment_size: 16
    .language:       OpenCL C
    .language_version:
      - 2
      - 0
    .max_flat_workgroup_size: 100
    .name:           _Z17flag_tails_kernelItiN10test_utils7greaterELj100ELj3EEvPT_Px
    .private_segment_fixed_size: 0
    .sgpr_count:     16
    .sgpr_spill_count: 0
    .symbol:         _Z17flag_tails_kernelItiN10test_utils7greaterELj100ELj3EEvPT_Px.kd
    .uniform_work_group_size: 1
    .uses_dynamic_stack: false
    .vgpr_count:     8
    .vgpr_spill_count: 0
    .wavefront_size: 64
  - .agpr_count:     0
    .args:
      - .address_space:  global
        .offset:         0
        .size:           8
        .value_kind:     global_buffer
      - .address_space:  global
        .offset:         8
        .size:           8
        .value_kind:     global_buffer
    .group_segment_fixed_size: 148
    .kernarg_segment_align: 8
    .kernarg_segment_size: 16
    .language:       OpenCL C
    .language_version:
      - 2
      - 0
    .max_flat_workgroup_size: 37
    .name:           _Z17flag_tails_kernelI12hip_bfloat16iN10test_utils7greaterELj37ELj3EEvPT_Px
    .private_segment_fixed_size: 0
    .sgpr_count:     16
    .sgpr_spill_count: 0
    .symbol:         _Z17flag_tails_kernelI12hip_bfloat16iN10test_utils7greaterELj37ELj3EEvPT_Px.kd
    .uniform_work_group_size: 1
    .uses_dynamic_stack: false
    .vgpr_count:     9
    .vgpr_spill_count: 0
    .wavefront_size: 64
  - .agpr_count:     0
    .args:
      - .address_space:  global
        .offset:         0
        .size:           8
        .value_kind:     global_buffer
      - .address_space:  global
        .offset:         8
        .size:           8
        .value_kind:     global_buffer
    .group_segment_fixed_size: 148
    .kernarg_segment_align: 8
    .kernarg_segment_size: 16
    .language:       OpenCL C
    .language_version:
      - 2
      - 0
    .max_flat_workgroup_size: 37
    .name:           _Z17flag_tails_kernelI6__halfiN10test_utils7greaterELj37ELj5EEvPT_Px
    .private_segment_fixed_size: 0
    .sgpr_count:     20
    .sgpr_spill_count: 0
    .symbol:         _Z17flag_tails_kernelI6__halfiN10test_utils7greaterELj37ELj5EEvPT_Px.kd
    .uniform_work_group_size: 1
    .uses_dynamic_stack: false
    .vgpr_count:     14
    .vgpr_spill_count: 0
    .wavefront_size: 64
  - .agpr_count:     0
    .args:
      - .address_space:  global
        .offset:         0
        .size:           8
        .value_kind:     global_buffer
      - .address_space:  global
        .offset:         8
        .size:           8
        .value_kind:     global_buffer
    .group_segment_fixed_size: 7424
    .kernarg_segment_align: 8
    .kernarg_segment_size: 16
    .language:       OpenCL C
    .language_version:
      - 2
      - 0
    .max_flat_workgroup_size: 464
    .name:           _Z17flag_tails_kernelIdjN6hipcub8EqualityELj464ELj2EEvPT_Px
    .private_segment_fixed_size: 0
    .sgpr_count:     16
    .sgpr_spill_count: 0
    .symbol:         _Z17flag_tails_kernelIdjN6hipcub8EqualityELj464ELj2EEvPT_Px.kd
    .uniform_work_group_size: 1
    .uses_dynamic_stack: false
    .vgpr_count:     10
    .vgpr_spill_count: 0
    .wavefront_size: 64
  - .agpr_count:     0
    .args:
      - .address_space:  global
        .offset:         0
        .size:           8
        .value_kind:     global_buffer
      - .address_space:  global
        .offset:         8
        .size:           8
        .value_kind:     global_buffer
    .group_segment_fixed_size: 528
    .kernarg_segment_align: 8
    .kernarg_segment_size: 16
    .language:       OpenCL C
    .language_version:
      - 2
      - 0
    .max_flat_workgroup_size: 33
    .name:           _Z17flag_tails_kernelIdi15custom_flag_op2IdELj33ELj5EEvPT_Px
    .private_segment_fixed_size: 0
    .sgpr_count:     24
    .sgpr_spill_count: 0
    .symbol:         _Z17flag_tails_kernelIdi15custom_flag_op2IdELj33ELj5EEvPT_Px.kd
    .uniform_work_group_size: 1
    .uses_dynamic_stack: false
    .vgpr_count:     23
    .vgpr_spill_count: 0
    .wavefront_size: 64
  - .agpr_count:     0
    .args:
      - .address_space:  global
        .offset:         0
        .size:           8
        .value_kind:     global_buffer
      - .address_space:  global
        .offset:         8
        .size:           8
        .value_kind:     global_buffer
    .group_segment_fixed_size: 2048
    .kernarg_segment_align: 8
    .kernarg_segment_size: 16
    .language:       OpenCL C
    .language_version:
      - 2
      - 0
    .max_flat_workgroup_size: 512
    .name:           _Z17flag_tails_kernelIssN6hipcub8EqualityELj512ELj8EEvPT_Px
    .private_segment_fixed_size: 0
    .sgpr_count:     20
    .sgpr_spill_count: 0
    .symbol:         _Z17flag_tails_kernelIssN6hipcub8EqualityELj512ELj8EEvPT_Px.kd
    .uniform_work_group_size: 1
    .uses_dynamic_stack: false
    .vgpr_count:     13
    .vgpr_spill_count: 0
    .wavefront_size: 64
  - .agpr_count:     0
    .args:
      - .address_space:  global
        .offset:         0
        .size:           8
        .value_kind:     global_buffer
      - .address_space:  global
        .offset:         8
        .size:           8
        .value_kind:     global_buffer
    .group_segment_fixed_size: 1024
    .kernarg_segment_align: 8
    .kernarg_segment_size: 16
    .language:       OpenCL C
    .language_version:
      - 2
      - 0
    .max_flat_workgroup_size: 256
    .name:           _Z17flag_tails_kernelIth15custom_flag_op2ItELj256ELj7EEvPT_Px
    .private_segment_fixed_size: 0
    .sgpr_count:     20
    .sgpr_spill_count: 0
    .symbol:         _Z17flag_tails_kernelIth15custom_flag_op2ItELj256ELj7EEvPT_Px.kd
    .uniform_work_group_size: 1
    .uses_dynamic_stack: false
    .vgpr_count:     16
    .vgpr_spill_count: 0
    .wavefront_size: 64
  - .agpr_count:     0
    .args:
      - .address_space:  global
        .offset:         0
        .size:           8
        .value_kind:     global_buffer
      - .address_space:  global
        .offset:         8
        .size:           8
        .value_kind:     global_buffer
    .group_segment_fixed_size: 1024
    .kernarg_segment_align: 8
    .kernarg_segment_size: 16
    .language:       OpenCL C
    .language_version:
      - 2
      - 0
    .max_flat_workgroup_size: 128
    .name:           _Z17flag_tails_kernelIisN10test_utils4lessELj128ELj4EEvPT_Px
    .private_segment_fixed_size: 0
    .sgpr_count:     18
    .sgpr_spill_count: 0
    .symbol:         _Z17flag_tails_kernelIisN10test_utils4lessELj128ELj4EEvPT_Px.kd
    .uniform_work_group_size: 1
    .uses_dynamic_stack: false
    .vgpr_count:     9
    .vgpr_spill_count: 0
    .wavefront_size: 64
  - .agpr_count:     0
    .args:
      - .address_space:  global
        .offset:         0
        .size:           8
        .value_kind:     global_buffer
      - .address_space:  global
        .offset:         8
        .size:           8
        .value_kind:     global_buffer
    .group_segment_fixed_size: 512
    .kernarg_segment_align: 8
    .kernarg_segment_size: 16
    .language:       OpenCL C
    .language_version:
      - 2
      - 0
    .max_flat_workgroup_size: 64
    .name:           _Z17flag_tails_kernelIic15custom_flag_op2IiELj64ELj2EEvPT_Px
    .private_segment_fixed_size: 0
    .sgpr_count:     16
    .sgpr_spill_count: 0
    .symbol:         _Z17flag_tails_kernelIic15custom_flag_op2IiELj64ELj2EEvPT_Px.kd
    .uniform_work_group_size: 1
    .uses_dynamic_stack: false
    .vgpr_count:     7
    .vgpr_spill_count: 0
    .wavefront_size: 64
  - .agpr_count:     0
    .args:
      - .address_space:  global
        .offset:         0
        .size:           8
        .value_kind:     global_buffer
      - .address_space:  global
        .offset:         8
        .size:           8
        .value_kind:     global_buffer
    .group_segment_fixed_size: 510
    .kernarg_segment_align: 8
    .kernarg_segment_size: 16
    .language:       OpenCL C
    .language_version:
      - 2
      - 0
    .max_flat_workgroup_size: 255
    .name:           _Z17flag_tails_kernelIhbN6hipcub8EqualityELj255ELj1EEvPT_Px
    .private_segment_fixed_size: 0
    .sgpr_count:     14
    .sgpr_spill_count: 0
    .symbol:         _Z17flag_tails_kernelIhbN6hipcub8EqualityELj255ELj1EEvPT_Px.kd
    .uniform_work_group_size: 1
    .uses_dynamic_stack: false
    .vgpr_count:     3
    .vgpr_spill_count: 0
    .wavefront_size: 64
  - .agpr_count:     0
    .args:
      - .address_space:  global
        .offset:         0
        .size:           8
        .value_kind:     global_buffer
      - .address_space:  global
        .offset:         8
        .size:           8
        .value_kind:     global_buffer
    .group_segment_fixed_size: 1296
    .kernarg_segment_align: 8
    .kernarg_segment_size: 16
    .language:       OpenCL C
    .language_version:
      - 2
      - 0
    .max_flat_workgroup_size: 162
    .name:           _Z17flag_tails_kernelIjxN6hipcub10InequalityELj162ELj1EEvPT_Px
    .private_segment_fixed_size: 0
    .sgpr_count:     14
    .sgpr_spill_count: 0
    .symbol:         _Z17flag_tails_kernelIjxN6hipcub10InequalityELj162ELj1EEvPT_Px.kd
    .uniform_work_group_size: 1
    .uses_dynamic_stack: false
    .vgpr_count:     4
    .vgpr_spill_count: 0
    .wavefront_size: 64
  - .agpr_count:     0
    .args:
      - .address_space:  global
        .offset:         0
        .size:           8
        .value_kind:     global_buffer
      - .address_space:  global
        .offset:         8
        .size:           8
        .value_kind:     global_buffer
    .group_segment_fixed_size: 8160
    .kernarg_segment_align: 8
    .kernarg_segment_size: 16
    .language:       OpenCL C
    .language_version:
      - 2
      - 0
    .max_flat_workgroup_size: 510
    .name:           _Z17flag_tails_kernelIxcN10test_utils13greater_equalELj510ELj1EEvPT_Px
    .private_segment_fixed_size: 0
    .sgpr_count:     16
    .sgpr_spill_count: 0
    .symbol:         _Z17flag_tails_kernelIxcN10test_utils13greater_equalELj510ELj1EEvPT_Px.kd
    .uniform_work_group_size: 1
    .uses_dynamic_stack: false
    .vgpr_count:     8
    .vgpr_spill_count: 0
    .wavefront_size: 64
  - .agpr_count:     0
    .args:
      - .address_space:  global
        .offset:         0
        .size:           8
        .value_kind:     global_buffer
      - .address_space:  global
        .offset:         8
        .size:           8
        .value_kind:     global_buffer
    .group_segment_fixed_size: 148
    .kernarg_segment_align: 8
    .kernarg_segment_size: 16
    .language:       OpenCL C
    .language_version:
      - 2
      - 0
    .max_flat_workgroup_size: 37
    .name:           _Z17flag_tails_kernelI12hip_bfloat16iN10test_utils7greaterELj37ELj1EEvPT_Px
    .private_segment_fixed_size: 0
    .sgpr_count:     16
    .sgpr_spill_count: 0
    .symbol:         _Z17flag_tails_kernelI12hip_bfloat16iN10test_utils7greaterELj37ELj1EEvPT_Px.kd
    .uniform_work_group_size: 1
    .uses_dynamic_stack: false
    .vgpr_count:     5
    .vgpr_spill_count: 0
    .wavefront_size: 64
  - .agpr_count:     0
    .args:
      - .address_space:  global
        .offset:         0
        .size:           8
        .value_kind:     global_buffer
      - .address_space:  global
        .offset:         8
        .size:           8
        .value_kind:     global_buffer
    .group_segment_fixed_size: 148
    .kernarg_segment_align: 8
    .kernarg_segment_size: 16
    .language:       OpenCL C
    .language_version:
      - 2
      - 0
    .max_flat_workgroup_size: 37
    .name:           _Z17flag_tails_kernelI6__halfiN10test_utils7greaterELj37ELj1EEvPT_Px
    .private_segment_fixed_size: 0
    .sgpr_count:     16
    .sgpr_spill_count: 0
    .symbol:         _Z17flag_tails_kernelI6__halfiN10test_utils7greaterELj37ELj1EEvPT_Px.kd
    .uniform_work_group_size: 1
    .uses_dynamic_stack: false
    .vgpr_count:     4
    .vgpr_spill_count: 0
    .wavefront_size: 64
  - .agpr_count:     0
    .args:
      - .address_space:  global
        .offset:         0
        .size:           8
        .value_kind:     global_buffer
      - .address_space:  global
        .offset:         8
        .size:           8
        .value_kind:     global_buffer
    .group_segment_fixed_size: 296
    .kernarg_segment_align: 8
    .kernarg_segment_size: 16
    .language:       OpenCL C
    .language_version:
      - 2
      - 0
    .max_flat_workgroup_size: 37
    .name:           _Z17flag_tails_kernelIfi15custom_flag_op1IfELj37ELj1EEvPT_Px
    .private_segment_fixed_size: 0
    .sgpr_count:     16
    .sgpr_spill_count: 0
    .symbol:         _Z17flag_tails_kernelIfi15custom_flag_op1IfELj37ELj1EEvPT_Px.kd
    .uniform_work_group_size: 1
    .uses_dynamic_stack: false
    .vgpr_count:     5
    .vgpr_spill_count: 0
    .wavefront_size: 64
  - .agpr_count:     0
    .args:
      - .address_space:  global
        .offset:         0
        .size:           8
        .value_kind:     global_buffer
      - .address_space:  global
        .offset:         8
        .size:           8
        .value_kind:     global_buffer
    .group_segment_fixed_size: 1040
    .kernarg_segment_align: 8
    .kernarg_segment_size: 16
    .language:       OpenCL C
    .language_version:
      - 2
      - 0
    .max_flat_workgroup_size: 65
    .name:           _Z17flag_tails_kernelIdjN10test_utils7greaterELj65ELj1EEvPT_Px
    .private_segment_fixed_size: 0
    .sgpr_count:     18
    .sgpr_spill_count: 0
    .symbol:         _Z17flag_tails_kernelIdjN10test_utils7greaterELj65ELj1EEvPT_Px.kd
    .uniform_work_group_size: 1
    .uses_dynamic_stack: false
    .vgpr_count:     8
    .vgpr_spill_count: 0
    .wavefront_size: 64
  - .agpr_count:     0
    .args:
      - .address_space:  global
        .offset:         0
        .size:           8
        .value_kind:     global_buffer
      - .address_space:  global
        .offset:         8
        .size:           8
        .value_kind:     global_buffer
    .group_segment_fixed_size: 2048
    .kernarg_segment_align: 8
    .kernarg_segment_size: 16
    .language:       OpenCL C
    .language_version:
      - 2
      - 0
    .max_flat_workgroup_size: 256
    .name:           _Z17flag_tails_kernelIib15custom_flag_op1IiELj256ELj1EEvPT_Px
    .private_segment_fixed_size: 0
    .sgpr_count:     16
    .sgpr_spill_count: 0
    .symbol:         _Z17flag_tails_kernelIib15custom_flag_op1IiELj256ELj1EEvPT_Px.kd
    .uniform_work_group_size: 1
    .uses_dynamic_stack: false
    .vgpr_count:     5
    .vgpr_spill_count: 0
    .wavefront_size: 64
  - .agpr_count:     0
    .args:
      - .address_space:  global
        .offset:         0
        .size:           8
        .value_kind:     global_buffer
      - .address_space:  global
        .offset:         8
        .size:           8
        .value_kind:     global_buffer
    .group_segment_fixed_size: 2048
    .kernarg_segment_align: 8
    .kernarg_segment_size: 16
    .language:       OpenCL C
    .language_version:
      - 2
      - 0
    .max_flat_workgroup_size: 1024
    .name:           _Z17flag_tails_kernelIccN10test_utils10less_equalELj1024ELj1EEvPT_Px
    .private_segment_fixed_size: 0
    .sgpr_count:     14
    .sgpr_spill_count: 0
    .symbol:         _Z17flag_tails_kernelIccN10test_utils10less_equalELj1024ELj1EEvPT_Px.kd
    .uniform_work_group_size: 1
    .uses_dynamic_stack: false
    .vgpr_count:     3
    .vgpr_spill_count: 0
    .wavefront_size: 64
  - .agpr_count:     0
    .args:
      - .address_space:  global
        .offset:         0
        .size:           8
        .value_kind:     global_buffer
      - .address_space:  global
        .offset:         8
        .size:           8
        .value_kind:     global_buffer
    .group_segment_fixed_size: 1024
    .kernarg_segment_align: 8
    .kernarg_segment_size: 16
    .language:       OpenCL C
    .language_version:
      - 2
      - 0
    .max_flat_workgroup_size: 256
    .name:           _Z17flag_tails_kernelI12hip_bfloat16iN10test_utils4lessELj256ELj1EEvPT_Px
    .private_segment_fixed_size: 0
    .sgpr_count:     14
    .sgpr_spill_count: 0
    .symbol:         _Z17flag_tails_kernelI12hip_bfloat16iN10test_utils4lessELj256ELj1EEvPT_Px.kd
    .uniform_work_group_size: 1
    .uses_dynamic_stack: false
    .vgpr_count:     5
    .vgpr_spill_count: 0
    .wavefront_size: 64
  - .agpr_count:     0
    .args:
      - .address_space:  global
        .offset:         0
        .size:           8
        .value_kind:     global_buffer
      - .address_space:  global
        .offset:         8
        .size:           8
        .value_kind:     global_buffer
    .group_segment_fixed_size: 1024
    .kernarg_segment_align: 8
    .kernarg_segment_size: 16
    .language:       OpenCL C
    .language_version:
      - 2
      - 0
    .max_flat_workgroup_size: 256
    .name:           _Z17flag_tails_kernelI6__halfiN10test_utils4lessELj256ELj1EEvPT_Px
    .private_segment_fixed_size: 0
    .sgpr_count:     14
    .sgpr_spill_count: 0
    .symbol:         _Z17flag_tails_kernelI6__halfiN10test_utils4lessELj256ELj1EEvPT_Px.kd
    .uniform_work_group_size: 1
    .uses_dynamic_stack: false
    .vgpr_count:     4
    .vgpr_spill_count: 0
    .wavefront_size: 64
  - .agpr_count:     0
    .args:
      - .address_space:  global
        .offset:         0
        .size:           8
        .value_kind:     global_buffer
      - .address_space:  global
        .offset:         8
        .size:           8
        .value_kind:     global_buffer
    .group_segment_fixed_size: 2048
    .kernarg_segment_align: 8
    .kernarg_segment_size: 16
    .language:       OpenCL C
    .language_version:
      - 2
      - 0
    .max_flat_workgroup_size: 256
    .name:           _Z17flag_tails_kernelIfiN10test_utils4lessELj256ELj1EEvPT_Px
    .private_segment_fixed_size: 0
    .sgpr_count:     14
    .sgpr_spill_count: 0
    .symbol:         _Z17flag_tails_kernelIfiN10test_utils4lessELj256ELj1EEvPT_Px.kd
    .uniform_work_group_size: 1
    .uses_dynamic_stack: false
    .vgpr_count:     4
    .vgpr_spill_count: 0
    .wavefront_size: 64
  - .agpr_count:     0
    .args:
      - .address_space:  global
        .offset:         0
        .size:           8
        .value_kind:     global_buffer
      - .address_space:  global
        .offset:         8
        .size:           8
        .value_kind:     global_buffer
    .group_segment_fixed_size: 1024
    .kernarg_segment_align: 8
    .kernarg_segment_size: 16
    .language:       OpenCL C
    .language_version:
      - 2
      - 0
    .max_flat_workgroup_size: 128
    .name:           _Z17flag_tails_kernelIibN6hipcub10InequalityELj128ELj1EEvPT_Px
    .private_segment_fixed_size: 0
    .sgpr_count:     14
    .sgpr_spill_count: 0
    .symbol:         _Z17flag_tails_kernelIibN6hipcub10InequalityELj128ELj1EEvPT_Px.kd
    .uniform_work_group_size: 1
    .uses_dynamic_stack: false
    .vgpr_count:     4
    .vgpr_spill_count: 0
    .wavefront_size: 64
  - .agpr_count:     0
    .args:
      - .address_space:  global
        .offset:         0
        .size:           8
        .value_kind:     global_buffer
      - .address_space:  global
        .offset:         8
        .size:           8
        .value_kind:     global_buffer
    .group_segment_fixed_size: 512
    .kernarg_segment_align: 8
    .kernarg_segment_size: 16
    .language:       OpenCL C
    .language_version:
      - 2
      - 0
    .max_flat_workgroup_size: 64
    .name:           _Z17flag_tails_kernelIjiN6hipcub8EqualityELj64ELj1EEvPT_Px
    .private_segment_fixed_size: 0
    .sgpr_count:     16
    .sgpr_spill_count: 0
    .symbol:         _Z17flag_tails_kernelIjiN6hipcub8EqualityELj64ELj1EEvPT_Px.kd
    .uniform_work_group_size: 1
    .uses_dynamic_stack: false
    .vgpr_count:     4
    .vgpr_spill_count: 0
    .wavefront_size: 64
  - .agpr_count:     0
    .args:
      - .address_space:  global
        .offset:         0
        .size:           8
        .value_kind:     global_buffer
      - .address_space:  global
        .offset:         8
        .size:           8
        .value_kind:     global_buffer
      - .address_space:  global
        .offset:         16
        .size:           8
        .value_kind:     global_buffer
    .group_segment_fixed_size: 936
    .kernarg_segment_align: 8
    .kernarg_segment_size: 24
    .language:       OpenCL C
    .language_version:
      - 2
      - 0
    .max_flat_workgroup_size: 234
    .name:           _Z27flag_heads_and_tails_kernelIsb15custom_flag_op1IsELj234ELj9EEvPT_PxS4_
    .private_segment_fixed_size: 0
    .sgpr_count:     54
    .sgpr_spill_count: 0
    .symbol:         _Z27flag_heads_and_tails_kernelIsb15custom_flag_op1IsELj234ELj9EEvPT_PxS4_.kd
    .uniform_work_group_size: 1
    .uses_dynamic_stack: false
    .vgpr_count:     24
    .vgpr_spill_count: 0
    .wavefront_size: 64
  - .agpr_count:     0
    .args:
      - .address_space:  global
        .offset:         0
        .size:           8
        .value_kind:     global_buffer
      - .address_space:  global
        .offset:         8
        .size:           8
        .value_kind:     global_buffer
      - .address_space:  global
        .offset:         16
        .size:           8
        .value_kind:     global_buffer
    .group_segment_fixed_size: 400
    .kernarg_segment_align: 8
    .kernarg_segment_size: 24
    .language:       OpenCL C
    .language_version:
      - 2
      - 0
    .max_flat_workgroup_size: 100
    .name:           _Z27flag_heads_and_tails_kernelItiN10test_utils7greaterELj100ELj3EEvPT_PxS4_
    .private_segment_fixed_size: 0
    .sgpr_count:     21
    .sgpr_spill_count: 0
    .symbol:         _Z27flag_heads_and_tails_kernelItiN10test_utils7greaterELj100ELj3EEvPT_PxS4_.kd
    .uniform_work_group_size: 1
    .uses_dynamic_stack: false
    .vgpr_count:     10
    .vgpr_spill_count: 0
    .wavefront_size: 64
  - .agpr_count:     0
    .args:
      - .address_space:  global
        .offset:         0
        .size:           8
        .value_kind:     global_buffer
      - .address_space:  global
        .offset:         8
        .size:           8
        .value_kind:     global_buffer
      - .address_space:  global
        .offset:         16
        .size:           8
        .value_kind:     global_buffer
    .group_segment_fixed_size: 148
    .kernarg_segment_align: 8
    .kernarg_segment_size: 24
    .language:       OpenCL C
    .language_version:
      - 2
      - 0
    .max_flat_workgroup_size: 37
    .name:           _Z27flag_heads_and_tails_kernelI12hip_bfloat16iN10test_utils7greaterELj37ELj3EEvPT_PxS5_
    .private_segment_fixed_size: 0
    .sgpr_count:     17
    .sgpr_spill_count: 0
    .symbol:         _Z27flag_heads_and_tails_kernelI12hip_bfloat16iN10test_utils7greaterELj37ELj3EEvPT_PxS5_.kd
    .uniform_work_group_size: 1
    .uses_dynamic_stack: false
    .vgpr_count:     13
    .vgpr_spill_count: 0
    .wavefront_size: 64
  - .agpr_count:     0
    .args:
      - .address_space:  global
        .offset:         0
        .size:           8
        .value_kind:     global_buffer
      - .address_space:  global
        .offset:         8
        .size:           8
        .value_kind:     global_buffer
      - .address_space:  global
        .offset:         16
        .size:           8
        .value_kind:     global_buffer
    .group_segment_fixed_size: 148
    .kernarg_segment_align: 8
    .kernarg_segment_size: 24
    .language:       OpenCL C
    .language_version:
      - 2
      - 0
    .max_flat_workgroup_size: 37
    .name:           _Z27flag_heads_and_tails_kernelI6__halfiN10test_utils7greaterELj37ELj5EEvPT_PxS5_
    .private_segment_fixed_size: 0
    .sgpr_count:     25
    .sgpr_spill_count: 0
    .symbol:         _Z27flag_heads_and_tails_kernelI6__halfiN10test_utils7greaterELj37ELj5EEvPT_PxS5_.kd
    .uniform_work_group_size: 1
    .uses_dynamic_stack: false
    .vgpr_count:     16
    .vgpr_spill_count: 0
    .wavefront_size: 64
  - .agpr_count:     0
    .args:
      - .address_space:  global
        .offset:         0
        .size:           8
        .value_kind:     global_buffer
      - .address_space:  global
        .offset:         8
        .size:           8
        .value_kind:     global_buffer
      - .address_space:  global
        .offset:         16
        .size:           8
        .value_kind:     global_buffer
    .group_segment_fixed_size: 7424
    .kernarg_segment_align: 8
    .kernarg_segment_size: 24
    .language:       OpenCL C
    .language_version:
      - 2
      - 0
    .max_flat_workgroup_size: 464
    .name:           _Z27flag_heads_and_tails_kernelIdjN6hipcub8EqualityELj464ELj2EEvPT_PxS4_
    .private_segment_fixed_size: 0
    .sgpr_count:     20
    .sgpr_spill_count: 0
    .symbol:         _Z27flag_heads_and_tails_kernelIdjN6hipcub8EqualityELj464ELj2EEvPT_PxS4_.kd
    .uniform_work_group_size: 1
    .uses_dynamic_stack: false
    .vgpr_count:     13
    .vgpr_spill_count: 0
    .wavefront_size: 64
  - .agpr_count:     0
    .args:
      - .address_space:  global
        .offset:         0
        .size:           8
        .value_kind:     global_buffer
      - .address_space:  global
        .offset:         8
        .size:           8
        .value_kind:     global_buffer
      - .address_space:  global
        .offset:         16
        .size:           8
        .value_kind:     global_buffer
    .group_segment_fixed_size: 528
    .kernarg_segment_align: 8
    .kernarg_segment_size: 24
    .language:       OpenCL C
    .language_version:
      - 2
      - 0
    .max_flat_workgroup_size: 33
    .name:           _Z27flag_heads_and_tails_kernelIdi15custom_flag_op2IdELj33ELj5EEvPT_PxS4_
    .private_segment_fixed_size: 0
    .sgpr_count:     28
    .sgpr_spill_count: 0
    .symbol:         _Z27flag_heads_and_tails_kernelIdi15custom_flag_op2IdELj33ELj5EEvPT_PxS4_.kd
    .uniform_work_group_size: 1
    .uses_dynamic_stack: false
    .vgpr_count:     27
    .vgpr_spill_count: 0
    .wavefront_size: 64
  - .agpr_count:     0
    .args:
      - .address_space:  global
        .offset:         0
        .size:           8
        .value_kind:     global_buffer
      - .address_space:  global
        .offset:         8
        .size:           8
        .value_kind:     global_buffer
      - .address_space:  global
        .offset:         16
        .size:           8
        .value_kind:     global_buffer
    .group_segment_fixed_size: 2048
    .kernarg_segment_align: 8
    .kernarg_segment_size: 24
    .language:       OpenCL C
    .language_version:
      - 2
      - 0
    .max_flat_workgroup_size: 512
    .name:           _Z27flag_heads_and_tails_kernelIssN6hipcub8EqualityELj512ELj8EEvPT_PxS4_
    .private_segment_fixed_size: 0
    .sgpr_count:     28
    .sgpr_spill_count: 0
    .symbol:         _Z27flag_heads_and_tails_kernelIssN6hipcub8EqualityELj512ELj8EEvPT_PxS4_.kd
    .uniform_work_group_size: 1
    .uses_dynamic_stack: false
    .vgpr_count:     21
    .vgpr_spill_count: 0
    .wavefront_size: 64
  - .agpr_count:     0
    .args:
      - .address_space:  global
        .offset:         0
        .size:           8
        .value_kind:     global_buffer
      - .address_space:  global
        .offset:         8
        .size:           8
        .value_kind:     global_buffer
      - .address_space:  global
        .offset:         16
        .size:           8
        .value_kind:     global_buffer
    .group_segment_fixed_size: 1024
    .kernarg_segment_align: 8
    .kernarg_segment_size: 24
    .language:       OpenCL C
    .language_version:
      - 2
      - 0
    .max_flat_workgroup_size: 256
    .name:           _Z27flag_heads_and_tails_kernelIth15custom_flag_op2ItELj256ELj7EEvPT_PxS4_
    .private_segment_fixed_size: 0
    .sgpr_count:     18
    .sgpr_spill_count: 0
    .symbol:         _Z27flag_heads_and_tails_kernelIth15custom_flag_op2ItELj256ELj7EEvPT_PxS4_.kd
    .uniform_work_group_size: 1
    .uses_dynamic_stack: false
    .vgpr_count:     22
    .vgpr_spill_count: 0
    .wavefront_size: 64
  - .agpr_count:     0
    .args:
      - .address_space:  global
        .offset:         0
        .size:           8
        .value_kind:     global_buffer
      - .address_space:  global
        .offset:         8
        .size:           8
        .value_kind:     global_buffer
      - .address_space:  global
        .offset:         16
        .size:           8
        .value_kind:     global_buffer
    .group_segment_fixed_size: 1024
    .kernarg_segment_align: 8
    .kernarg_segment_size: 24
    .language:       OpenCL C
    .language_version:
      - 2
      - 0
    .max_flat_workgroup_size: 128
    .name:           _Z27flag_heads_and_tails_kernelIisN10test_utils4lessELj128ELj4EEvPT_PxS4_
    .private_segment_fixed_size: 0
    .sgpr_count:     20
    .sgpr_spill_count: 0
    .symbol:         _Z27flag_heads_and_tails_kernelIisN10test_utils4lessELj128ELj4EEvPT_PxS4_.kd
    .uniform_work_group_size: 1
    .uses_dynamic_stack: false
    .vgpr_count:     13
    .vgpr_spill_count: 0
    .wavefront_size: 64
  - .agpr_count:     0
    .args:
      - .address_space:  global
        .offset:         0
        .size:           8
        .value_kind:     global_buffer
      - .address_space:  global
        .offset:         8
        .size:           8
        .value_kind:     global_buffer
      - .address_space:  global
        .offset:         16
        .size:           8
        .value_kind:     global_buffer
    .group_segment_fixed_size: 512
    .kernarg_segment_align: 8
    .kernarg_segment_size: 24
    .language:       OpenCL C
    .language_version:
      - 2
      - 0
    .max_flat_workgroup_size: 64
    .name:           _Z27flag_heads_and_tails_kernelIic15custom_flag_op2IiELj64ELj2EEvPT_PxS4_
    .private_segment_fixed_size: 0
    .sgpr_count:     18
    .sgpr_spill_count: 0
    .symbol:         _Z27flag_heads_and_tails_kernelIic15custom_flag_op2IiELj64ELj2EEvPT_PxS4_.kd
    .uniform_work_group_size: 1
    .uses_dynamic_stack: false
    .vgpr_count:     9
    .vgpr_spill_count: 0
    .wavefront_size: 64
  - .agpr_count:     0
    .args:
      - .address_space:  global
        .offset:         0
        .size:           8
        .value_kind:     global_buffer
      - .address_space:  global
        .offset:         8
        .size:           8
        .value_kind:     global_buffer
      - .address_space:  global
        .offset:         16
        .size:           8
        .value_kind:     global_buffer
    .group_segment_fixed_size: 510
    .kernarg_segment_align: 8
    .kernarg_segment_size: 24
    .language:       OpenCL C
    .language_version:
      - 2
      - 0
    .max_flat_workgroup_size: 255
    .name:           _Z27flag_heads_and_tails_kernelIhbN6hipcub8EqualityELj255ELj1EEvPT_PxS4_
    .private_segment_fixed_size: 0
    .sgpr_count:     19
    .sgpr_spill_count: 0
    .symbol:         _Z27flag_heads_and_tails_kernelIhbN6hipcub8EqualityELj255ELj1EEvPT_PxS4_.kd
    .uniform_work_group_size: 1
    .uses_dynamic_stack: false
    .vgpr_count:     6
    .vgpr_spill_count: 0
    .wavefront_size: 64
  - .agpr_count:     0
    .args:
      - .address_space:  global
        .offset:         0
        .size:           8
        .value_kind:     global_buffer
      - .address_space:  global
        .offset:         8
        .size:           8
        .value_kind:     global_buffer
      - .address_space:  global
        .offset:         16
        .size:           8
        .value_kind:     global_buffer
    .group_segment_fixed_size: 1296
    .kernarg_segment_align: 8
    .kernarg_segment_size: 24
    .language:       OpenCL C
    .language_version:
      - 2
      - 0
    .max_flat_workgroup_size: 162
    .name:           _Z27flag_heads_and_tails_kernelIjxN6hipcub10InequalityELj162ELj1EEvPT_PxS4_
    .private_segment_fixed_size: 0
    .sgpr_count:     19
    .sgpr_spill_count: 0
    .symbol:         _Z27flag_heads_and_tails_kernelIjxN6hipcub10InequalityELj162ELj1EEvPT_PxS4_.kd
    .uniform_work_group_size: 1
    .uses_dynamic_stack: false
    .vgpr_count:     6
    .vgpr_spill_count: 0
    .wavefront_size: 64
  - .agpr_count:     0
    .args:
      - .address_space:  global
        .offset:         0
        .size:           8
        .value_kind:     global_buffer
      - .address_space:  global
        .offset:         8
        .size:           8
        .value_kind:     global_buffer
      - .address_space:  global
        .offset:         16
        .size:           8
        .value_kind:     global_buffer
    .group_segment_fixed_size: 8160
    .kernarg_segment_align: 8
    .kernarg_segment_size: 24
    .language:       OpenCL C
    .language_version:
      - 2
      - 0
    .max_flat_workgroup_size: 510
    .name:           _Z27flag_heads_and_tails_kernelIxcN10test_utils13greater_equalELj510ELj1EEvPT_PxS4_
    .private_segment_fixed_size: 0
    .sgpr_count:     20
    .sgpr_spill_count: 0
    .symbol:         _Z27flag_heads_and_tails_kernelIxcN10test_utils13greater_equalELj510ELj1EEvPT_PxS4_.kd
    .uniform_work_group_size: 1
    .uses_dynamic_stack: false
    .vgpr_count:     8
    .vgpr_spill_count: 0
    .wavefront_size: 64
  - .agpr_count:     0
    .args:
      - .address_space:  global
        .offset:         0
        .size:           8
        .value_kind:     global_buffer
      - .address_space:  global
        .offset:         8
        .size:           8
        .value_kind:     global_buffer
      - .address_space:  global
        .offset:         16
        .size:           8
        .value_kind:     global_buffer
    .group_segment_fixed_size: 148
    .kernarg_segment_align: 8
    .kernarg_segment_size: 24
    .language:       OpenCL C
    .language_version:
      - 2
      - 0
    .max_flat_workgroup_size: 37
    .name:           _Z27flag_heads_and_tails_kernelI12hip_bfloat16iN10test_utils7greaterELj37ELj1EEvPT_PxS5_
    .private_segment_fixed_size: 0
    .sgpr_count:     19
    .sgpr_spill_count: 0
    .symbol:         _Z27flag_heads_and_tails_kernelI12hip_bfloat16iN10test_utils7greaterELj37ELj1EEvPT_PxS5_.kd
    .uniform_work_group_size: 1
    .uses_dynamic_stack: false
    .vgpr_count:     6
    .vgpr_spill_count: 0
    .wavefront_size: 64
  - .agpr_count:     0
    .args:
      - .address_space:  global
        .offset:         0
        .size:           8
        .value_kind:     global_buffer
      - .address_space:  global
        .offset:         8
        .size:           8
        .value_kind:     global_buffer
      - .address_space:  global
        .offset:         16
        .size:           8
        .value_kind:     global_buffer
    .group_segment_fixed_size: 148
    .kernarg_segment_align: 8
    .kernarg_segment_size: 24
    .language:       OpenCL C
    .language_version:
      - 2
      - 0
    .max_flat_workgroup_size: 37
    .name:           _Z27flag_heads_and_tails_kernelI6__halfiN10test_utils7greaterELj37ELj1EEvPT_PxS5_
    .private_segment_fixed_size: 0
    .sgpr_count:     19
    .sgpr_spill_count: 0
    .symbol:         _Z27flag_heads_and_tails_kernelI6__halfiN10test_utils7greaterELj37ELj1EEvPT_PxS5_.kd
    .uniform_work_group_size: 1
    .uses_dynamic_stack: false
    .vgpr_count:     6
    .vgpr_spill_count: 0
    .wavefront_size: 64
  - .agpr_count:     0
    .args:
      - .address_space:  global
        .offset:         0
        .size:           8
        .value_kind:     global_buffer
      - .address_space:  global
        .offset:         8
        .size:           8
        .value_kind:     global_buffer
      - .address_space:  global
        .offset:         16
        .size:           8
        .value_kind:     global_buffer
    .group_segment_fixed_size: 296
    .kernarg_segment_align: 8
    .kernarg_segment_size: 24
    .language:       OpenCL C
    .language_version:
      - 2
      - 0
    .max_flat_workgroup_size: 37
    .name:           _Z27flag_heads_and_tails_kernelIfi15custom_flag_op1IfELj37ELj1EEvPT_PxS4_
    .private_segment_fixed_size: 0
    .sgpr_count:     19
    .sgpr_spill_count: 0
    .symbol:         _Z27flag_heads_and_tails_kernelIfi15custom_flag_op1IfELj37ELj1EEvPT_PxS4_.kd
    .uniform_work_group_size: 1
    .uses_dynamic_stack: false
    .vgpr_count:     6
    .vgpr_spill_count: 0
    .wavefront_size: 64
  - .agpr_count:     0
    .args:
      - .address_space:  global
        .offset:         0
        .size:           8
        .value_kind:     global_buffer
      - .address_space:  global
        .offset:         8
        .size:           8
        .value_kind:     global_buffer
      - .address_space:  global
        .offset:         16
        .size:           8
        .value_kind:     global_buffer
    .group_segment_fixed_size: 1040
    .kernarg_segment_align: 8
    .kernarg_segment_size: 24
    .language:       OpenCL C
    .language_version:
      - 2
      - 0
    .max_flat_workgroup_size: 65
    .name:           _Z27flag_heads_and_tails_kernelIdjN10test_utils7greaterELj65ELj1EEvPT_PxS4_
    .private_segment_fixed_size: 0
    .sgpr_count:     20
    .sgpr_spill_count: 0
    .symbol:         _Z27flag_heads_and_tails_kernelIdjN10test_utils7greaterELj65ELj1EEvPT_PxS4_.kd
    .uniform_work_group_size: 1
    .uses_dynamic_stack: false
    .vgpr_count:     9
    .vgpr_spill_count: 0
    .wavefront_size: 64
  - .agpr_count:     0
    .args:
      - .address_space:  global
        .offset:         0
        .size:           8
        .value_kind:     global_buffer
      - .address_space:  global
        .offset:         8
        .size:           8
        .value_kind:     global_buffer
      - .address_space:  global
        .offset:         16
        .size:           8
        .value_kind:     global_buffer
    .group_segment_fixed_size: 2048
    .kernarg_segment_align: 8
    .kernarg_segment_size: 24
    .language:       OpenCL C
    .language_version:
      - 2
      - 0
    .max_flat_workgroup_size: 256
    .name:           _Z27flag_heads_and_tails_kernelIib15custom_flag_op1IiELj256ELj1EEvPT_PxS4_
    .private_segment_fixed_size: 0
    .sgpr_count:     21
    .sgpr_spill_count: 0
    .symbol:         _Z27flag_heads_and_tails_kernelIib15custom_flag_op1IiELj256ELj1EEvPT_PxS4_.kd
    .uniform_work_group_size: 1
    .uses_dynamic_stack: false
    .vgpr_count:     6
    .vgpr_spill_count: 0
    .wavefront_size: 64
  - .agpr_count:     0
    .args:
      - .address_space:  global
        .offset:         0
        .size:           8
        .value_kind:     global_buffer
      - .address_space:  global
        .offset:         8
        .size:           8
        .value_kind:     global_buffer
      - .address_space:  global
        .offset:         16
        .size:           8
        .value_kind:     global_buffer
    .group_segment_fixed_size: 2048
    .kernarg_segment_align: 8
    .kernarg_segment_size: 24
    .language:       OpenCL C
    .language_version:
      - 2
      - 0
    .max_flat_workgroup_size: 1024
    .name:           _Z27flag_heads_and_tails_kernelIccN10test_utils10less_equalELj1024ELj1EEvPT_PxS4_
    .private_segment_fixed_size: 0
    .sgpr_count:     19
    .sgpr_spill_count: 0
    .symbol:         _Z27flag_heads_and_tails_kernelIccN10test_utils10less_equalELj1024ELj1EEvPT_PxS4_.kd
    .uniform_work_group_size: 1
    .uses_dynamic_stack: false
    .vgpr_count:     6
    .vgpr_spill_count: 0
    .wavefront_size: 64
  - .agpr_count:     0
    .args:
      - .address_space:  global
        .offset:         0
        .size:           8
        .value_kind:     global_buffer
      - .address_space:  global
        .offset:         8
        .size:           8
        .value_kind:     global_buffer
      - .address_space:  global
        .offset:         16
        .size:           8
        .value_kind:     global_buffer
    .group_segment_fixed_size: 1024
    .kernarg_segment_align: 8
    .kernarg_segment_size: 24
    .language:       OpenCL C
    .language_version:
      - 2
      - 0
    .max_flat_workgroup_size: 256
    .name:           _Z27flag_heads_and_tails_kernelI12hip_bfloat16iN10test_utils4lessELj256ELj1EEvPT_PxS5_
    .private_segment_fixed_size: 0
    .sgpr_count:     19
    .sgpr_spill_count: 0
    .symbol:         _Z27flag_heads_and_tails_kernelI12hip_bfloat16iN10test_utils4lessELj256ELj1EEvPT_PxS5_.kd
    .uniform_work_group_size: 1
    .uses_dynamic_stack: false
    .vgpr_count:     6
    .vgpr_spill_count: 0
    .wavefront_size: 64
  - .agpr_count:     0
    .args:
      - .address_space:  global
        .offset:         0
        .size:           8
        .value_kind:     global_buffer
      - .address_space:  global
        .offset:         8
        .size:           8
        .value_kind:     global_buffer
      - .address_space:  global
        .offset:         16
        .size:           8
        .value_kind:     global_buffer
    .group_segment_fixed_size: 1024
    .kernarg_segment_align: 8
    .kernarg_segment_size: 24
    .language:       OpenCL C
    .language_version:
      - 2
      - 0
    .max_flat_workgroup_size: 256
    .name:           _Z27flag_heads_and_tails_kernelI6__halfiN10test_utils4lessELj256ELj1EEvPT_PxS5_
    .private_segment_fixed_size: 0
    .sgpr_count:     19
    .sgpr_spill_count: 0
    .symbol:         _Z27flag_heads_and_tails_kernelI6__halfiN10test_utils4lessELj256ELj1EEvPT_PxS5_.kd
    .uniform_work_group_size: 1
    .uses_dynamic_stack: false
    .vgpr_count:     6
    .vgpr_spill_count: 0
    .wavefront_size: 64
  - .agpr_count:     0
    .args:
      - .address_space:  global
        .offset:         0
        .size:           8
        .value_kind:     global_buffer
      - .address_space:  global
        .offset:         8
        .size:           8
        .value_kind:     global_buffer
      - .address_space:  global
        .offset:         16
        .size:           8
        .value_kind:     global_buffer
    .group_segment_fixed_size: 2048
    .kernarg_segment_align: 8
    .kernarg_segment_size: 24
    .language:       OpenCL C
    .language_version:
      - 2
      - 0
    .max_flat_workgroup_size: 256
    .name:           _Z27flag_heads_and_tails_kernelIfiN10test_utils4lessELj256ELj1EEvPT_PxS4_
    .private_segment_fixed_size: 0
    .sgpr_count:     19
    .sgpr_spill_count: 0
    .symbol:         _Z27flag_heads_and_tails_kernelIfiN10test_utils4lessELj256ELj1EEvPT_PxS4_.kd
    .uniform_work_group_size: 1
    .uses_dynamic_stack: false
    .vgpr_count:     5
    .vgpr_spill_count: 0
    .wavefront_size: 64
  - .agpr_count:     0
    .args:
      - .address_space:  global
        .offset:         0
        .size:           8
        .value_kind:     global_buffer
      - .address_space:  global
        .offset:         8
        .size:           8
        .value_kind:     global_buffer
      - .address_space:  global
        .offset:         16
        .size:           8
        .value_kind:     global_buffer
    .group_segment_fixed_size: 1024
    .kernarg_segment_align: 8
    .kernarg_segment_size: 24
    .language:       OpenCL C
    .language_version:
      - 2
      - 0
    .max_flat_workgroup_size: 128
    .name:           _Z27flag_heads_and_tails_kernelIibN6hipcub10InequalityELj128ELj1EEvPT_PxS4_
    .private_segment_fixed_size: 0
    .sgpr_count:     19
    .sgpr_spill_count: 0
    .symbol:         _Z27flag_heads_and_tails_kernelIibN6hipcub10InequalityELj128ELj1EEvPT_PxS4_.kd
    .uniform_work_group_size: 1
    .uses_dynamic_stack: false
    .vgpr_count:     5
    .vgpr_spill_count: 0
    .wavefront_size: 64
  - .agpr_count:     0
    .args:
      - .address_space:  global
        .offset:         0
        .size:           8
        .value_kind:     global_buffer
      - .address_space:  global
        .offset:         8
        .size:           8
        .value_kind:     global_buffer
      - .address_space:  global
        .offset:         16
        .size:           8
        .value_kind:     global_buffer
    .group_segment_fixed_size: 512
    .kernarg_segment_align: 8
    .kernarg_segment_size: 24
    .language:       OpenCL C
    .language_version:
      - 2
      - 0
    .max_flat_workgroup_size: 64
    .name:           _Z27flag_heads_and_tails_kernelIjiN6hipcub8EqualityELj64ELj1EEvPT_PxS4_
    .private_segment_fixed_size: 0
    .sgpr_count:     19
    .sgpr_spill_count: 0
    .symbol:         _Z27flag_heads_and_tails_kernelIjiN6hipcub8EqualityELj64ELj1EEvPT_PxS4_.kd
    .uniform_work_group_size: 1
    .uses_dynamic_stack: false
    .vgpr_count:     5
    .vgpr_spill_count: 0
    .wavefront_size: 64
  - .agpr_count:     0
    .args:
      - .address_space:  global
        .offset:         0
        .size:           8
        .value_kind:     global_buffer
      - .address_space:  global
        .offset:         8
        .size:           8
        .value_kind:     global_buffer
    .group_segment_fixed_size: 936
    .kernarg_segment_align: 8
    .kernarg_segment_size: 16
    .language:       OpenCL C
    .language_version:
      - 2
      - 0
    .max_flat_workgroup_size: 234
    .name:           _Z20subtract_left_kernelIsbi10custom_op2Lj234ELj9EEvPKT_PT1_
    .private_segment_fixed_size: 0
    .sgpr_count:     14
    .sgpr_spill_count: 0
    .symbol:         _Z20subtract_left_kernelIsbi10custom_op2Lj234ELj9EEvPKT_PT1_.kd
    .uniform_work_group_size: 1
    .uses_dynamic_stack: false
    .vgpr_count:     17
    .vgpr_spill_count: 0
    .wavefront_size: 64
  - .agpr_count:     0
    .args:
      - .address_space:  global
        .offset:         0
        .size:           8
        .value_kind:     global_buffer
      - .address_space:  global
        .offset:         8
        .size:           8
        .value_kind:     global_buffer
    .group_segment_fixed_size: 400
    .kernarg_segment_align: 8
    .kernarg_segment_size: 16
    .language:       OpenCL C
    .language_version:
      - 2
      - 0
    .max_flat_workgroup_size: 100
    .name:           _Z20subtract_left_kernelItii10custom_op1Lj100ELj3EEvPKT_PT1_
    .private_segment_fixed_size: 0
    .sgpr_count:     16
    .sgpr_spill_count: 0
    .symbol:         _Z20subtract_left_kernelItii10custom_op1Lj100ELj3EEvPKT_PT1_.kd
    .uniform_work_group_size: 1
    .uses_dynamic_stack: false
    .vgpr_count:     9
    .vgpr_spill_count: 0
    .wavefront_size: 64
  - .agpr_count:     0
    .args:
      - .address_space:  global
        .offset:         0
        .size:           8
        .value_kind:     global_buffer
      - .address_space:  global
        .offset:         8
        .size:           8
        .value_kind:     global_buffer
    .group_segment_fixed_size: 7424
    .kernarg_segment_align: 8
    .kernarg_segment_size: 16
    .language:       OpenCL C
    .language_version:
      - 2
      - 0
    .max_flat_workgroup_size: 464
    .name:           _Z20subtract_left_kernelIdjjN6hipcub3SumELj464ELj2EEvPKT_PT1_
    .private_segment_fixed_size: 0
    .sgpr_count:     14
    .sgpr_spill_count: 0
    .symbol:         _Z20subtract_left_kernelIdjjN6hipcub3SumELj464ELj2EEvPKT_PT1_.kd
    .uniform_work_group_size: 1
    .uses_dynamic_stack: false
    .vgpr_count:     11
    .vgpr_spill_count: 0
    .wavefront_size: 64
  - .agpr_count:     0
    .args:
      - .address_space:  global
        .offset:         0
        .size:           8
        .value_kind:     global_buffer
      - .address_space:  global
        .offset:         8
        .size:           8
        .value_kind:     global_buffer
    .group_segment_fixed_size: 528
    .kernarg_segment_align: 8
    .kernarg_segment_size: 16
    .language:       OpenCL C
    .language_version:
      - 2
      - 0
    .max_flat_workgroup_size: 33
    .name:           _Z20subtract_left_kernelIdii10custom_op2Lj33ELj5EEvPKT_PT1_
    .private_segment_fixed_size: 0
    .sgpr_count:     14
    .sgpr_spill_count: 0
    .symbol:         _Z20subtract_left_kernelIdii10custom_op2Lj33ELj5EEvPKT_PT1_.kd
    .uniform_work_group_size: 1
    .uses_dynamic_stack: false
    .vgpr_count:     20
    .vgpr_spill_count: 0
    .wavefront_size: 64
  - .agpr_count:     0
    .args:
      - .address_space:  global
        .offset:         0
        .size:           8
        .value_kind:     global_buffer
      - .address_space:  global
        .offset:         8
        .size:           8
        .value_kind:     global_buffer
    .group_segment_fixed_size: 2048
    .kernarg_segment_align: 8
    .kernarg_segment_size: 16
    .language:       OpenCL C
    .language_version:
      - 2
      - 0
    .max_flat_workgroup_size: 512
    .name:           _Z20subtract_left_kernelIsss10custom_op1Lj512ELj8EEvPKT_PT1_
    .private_segment_fixed_size: 0
    .sgpr_count:     16
    .sgpr_spill_count: 0
    .symbol:         _Z20subtract_left_kernelIsss10custom_op1Lj512ELj8EEvPKT_PT1_.kd
    .uniform_work_group_size: 1
    .uses_dynamic_stack: false
    .vgpr_count:     13
    .vgpr_spill_count: 0
    .wavefront_size: 64
  - .agpr_count:     0
    .args:
      - .address_space:  global
        .offset:         0
        .size:           8
        .value_kind:     global_buffer
      - .address_space:  global
        .offset:         8
        .size:           8
        .value_kind:     global_buffer
    .group_segment_fixed_size: 1024
    .kernarg_segment_align: 8
    .kernarg_segment_size: 16
    .language:       OpenCL C
    .language_version:
      - 2
      - 0
    .max_flat_workgroup_size: 256
    .name:           _Z20subtract_left_kernelIthhN6hipcub3SumELj256ELj7EEvPKT_PT1_
    .private_segment_fixed_size: 0
    .sgpr_count:     14
    .sgpr_spill_count: 0
    .symbol:         _Z20subtract_left_kernelIthhN6hipcub3SumELj256ELj7EEvPKT_PT1_.kd
    .uniform_work_group_size: 1
    .uses_dynamic_stack: false
    .vgpr_count:     14
    .vgpr_spill_count: 0
    .wavefront_size: 64
  - .agpr_count:     0
    .args:
      - .address_space:  global
        .offset:         0
        .size:           8
        .value_kind:     global_buffer
      - .address_space:  global
        .offset:         8
        .size:           8
        .value_kind:     global_buffer
    .group_segment_fixed_size: 1024
    .kernarg_segment_align: 8
    .kernarg_segment_size: 16
    .language:       OpenCL C
    .language_version:
      - 2
      - 0
    .max_flat_workgroup_size: 128
    .name:           _Z20subtract_left_kernelIiss10custom_op2Lj128ELj4EEvPKT_PT1_
    .private_segment_fixed_size: 0
    .sgpr_count:     14
    .sgpr_spill_count: 0
    .symbol:         _Z20subtract_left_kernelIiss10custom_op2Lj128ELj4EEvPKT_PT1_.kd
    .uniform_work_group_size: 1
    .uses_dynamic_stack: false
    .vgpr_count:     10
    .vgpr_spill_count: 0
    .wavefront_size: 64
  - .agpr_count:     0
    .args:
      - .address_space:  global
        .offset:         0
        .size:           8
        .value_kind:     global_buffer
      - .address_space:  global
        .offset:         8
        .size:           8
        .value_kind:     global_buffer
    .group_segment_fixed_size: 512
    .kernarg_segment_align: 8
    .kernarg_segment_size: 16
    .language:       OpenCL C
    .language_version:
      - 2
      - 0
    .max_flat_workgroup_size: 64
    .name:           _Z20subtract_left_kernelIicc10custom_op1Lj64ELj2EEvPKT_PT1_
    .private_segment_fixed_size: 0
    .sgpr_count:     14
    .sgpr_spill_count: 0
    .symbol:         _Z20subtract_left_kernelIicc10custom_op1Lj64ELj2EEvPKT_PT1_.kd
    .uniform_work_group_size: 1
    .uses_dynamic_stack: false
    .vgpr_count:     7
    .vgpr_spill_count: 0
    .wavefront_size: 64
  - .agpr_count:     0
    .args:
      - .address_space:  global
        .offset:         0
        .size:           8
        .value_kind:     global_buffer
      - .address_space:  global
        .offset:         8
        .size:           8
        .value_kind:     global_buffer
    .group_segment_fixed_size: 510
    .kernarg_segment_align: 8
    .kernarg_segment_size: 16
    .language:       OpenCL C
    .language_version:
      - 2
      - 0
    .max_flat_workgroup_size: 255
    .name:           _Z20subtract_left_kernelIhbiN6hipcub3SumELj255ELj1EEvPKT_PT1_
    .private_segment_fixed_size: 0
    .sgpr_count:     14
    .sgpr_spill_count: 0
    .symbol:         _Z20subtract_left_kernelIhbiN6hipcub3SumELj255ELj1EEvPKT_PT1_.kd
    .uniform_work_group_size: 1
    .uses_dynamic_stack: false
    .vgpr_count:     3
    .vgpr_spill_count: 0
    .wavefront_size: 64
  - .agpr_count:     0
    .args:
      - .address_space:  global
        .offset:         0
        .size:           8
        .value_kind:     global_buffer
      - .address_space:  global
        .offset:         8
        .size:           8
        .value_kind:     global_buffer
    .group_segment_fixed_size: 1296
    .kernarg_segment_align: 8
    .kernarg_segment_size: 16
    .language:       OpenCL C
    .language_version:
      - 2
      - 0
    .max_flat_workgroup_size: 162
    .name:           _Z20subtract_left_kernelIjxx10custom_op2Lj162ELj1EEvPKT_PT1_
    .private_segment_fixed_size: 0
    .sgpr_count:     14
    .sgpr_spill_count: 0
    .symbol:         _Z20subtract_left_kernelIjxx10custom_op2Lj162ELj1EEvPKT_PT1_.kd
    .uniform_work_group_size: 1
    .uses_dynamic_stack: false
    .vgpr_count:     4
    .vgpr_spill_count: 0
    .wavefront_size: 64
  - .agpr_count:     0
    .args:
      - .address_space:  global
        .offset:         0
        .size:           8
        .value_kind:     global_buffer
      - .address_space:  global
        .offset:         8
        .size:           8
        .value_kind:     global_buffer
    .group_segment_fixed_size: 8160
    .kernarg_segment_align: 8
    .kernarg_segment_size: 16
    .language:       OpenCL C
    .language_version:
      - 2
      - 0
    .max_flat_workgroup_size: 510
    .name:           _Z20subtract_left_kernelIxcc10custom_op1Lj510ELj1EEvPKT_PT1_
    .private_segment_fixed_size: 0
    .sgpr_count:     14
    .sgpr_spill_count: 0
    .symbol:         _Z20subtract_left_kernelIxcc10custom_op1Lj510ELj1EEvPKT_PT1_.kd
    .uniform_work_group_size: 1
    .uses_dynamic_stack: false
    .vgpr_count:     6
    .vgpr_spill_count: 0
    .wavefront_size: 64
  - .agpr_count:     0
    .args:
      - .address_space:  global
        .offset:         0
        .size:           8
        .value_kind:     global_buffer
      - .address_space:  global
        .offset:         8
        .size:           8
        .value_kind:     global_buffer
    .group_segment_fixed_size: 296
    .kernarg_segment_align: 8
    .kernarg_segment_size: 16
    .language:       OpenCL C
    .language_version:
      - 2
      - 0
    .max_flat_workgroup_size: 37
    .name:           _Z20subtract_left_kernelIfiiN6hipcub3SumELj37ELj1EEvPKT_PT1_
    .private_segment_fixed_size: 0
    .sgpr_count:     16
    .sgpr_spill_count: 0
    .symbol:         _Z20subtract_left_kernelIfiiN6hipcub3SumELj37ELj1EEvPKT_PT1_.kd
    .uniform_work_group_size: 1
    .uses_dynamic_stack: false
    .vgpr_count:     4
    .vgpr_spill_count: 0
    .wavefront_size: 64
  - .agpr_count:     0
    .args:
      - .address_space:  global
        .offset:         0
        .size:           8
        .value_kind:     global_buffer
      - .address_space:  global
        .offset:         8
        .size:           8
        .value_kind:     global_buffer
    .group_segment_fixed_size: 2048
    .kernarg_segment_align: 8
    .kernarg_segment_size: 16
    .language:       OpenCL C
    .language_version:
      - 2
      - 0
    .max_flat_workgroup_size: 256
    .name:           _Z20subtract_left_kernelIibi10custom_op1Lj256ELj1EEvPKT_PT1_
    .private_segment_fixed_size: 0
    .sgpr_count:     16
    .sgpr_spill_count: 0
    .symbol:         _Z20subtract_left_kernelIibi10custom_op1Lj256ELj1EEvPKT_PT1_.kd
    .uniform_work_group_size: 1
    .uses_dynamic_stack: false
    .vgpr_count:     4
    .vgpr_spill_count: 0
    .wavefront_size: 64
  - .agpr_count:     0
    .args:
      - .address_space:  global
        .offset:         0
        .size:           8
        .value_kind:     global_buffer
      - .address_space:  global
        .offset:         8
        .size:           8
        .value_kind:     global_buffer
    .group_segment_fixed_size: 1024
    .kernarg_segment_align: 8
    .kernarg_segment_size: 16
    .language:       OpenCL C
    .language_version:
      - 2
      - 0
    .max_flat_workgroup_size: 256
    .name:           _Z20subtract_left_kernelI12hip_bfloat16ii10custom_op2Lj256ELj1EEvPKT_PT1_
    .private_segment_fixed_size: 0
    .sgpr_count:     14
    .sgpr_spill_count: 0
    .symbol:         _Z20subtract_left_kernelI12hip_bfloat16ii10custom_op2Lj256ELj1EEvPKT_PT1_.kd
    .uniform_work_group_size: 1
    .uses_dynamic_stack: false
    .vgpr_count:     6
    .vgpr_spill_count: 0
    .wavefront_size: 64
  - .agpr_count:     0
    .args:
      - .address_space:  global
        .offset:         0
        .size:           8
        .value_kind:     global_buffer
      - .address_space:  global
        .offset:         8
        .size:           8
        .value_kind:     global_buffer
    .group_segment_fixed_size: 1024
    .kernarg_segment_align: 8
    .kernarg_segment_size: 16
    .language:       OpenCL C
    .language_version:
      - 2
      - 0
    .max_flat_workgroup_size: 256
    .name:           _Z20subtract_left_kernelI6__halfii10custom_op1Lj256ELj1EEvPKT_PT1_
    .private_segment_fixed_size: 0
    .sgpr_count:     14
    .sgpr_spill_count: 0
    .symbol:         _Z20subtract_left_kernelI6__halfii10custom_op1Lj256ELj1EEvPKT_PT1_.kd
    .uniform_work_group_size: 1
    .uses_dynamic_stack: false
    .vgpr_count:     4
    .vgpr_spill_count: 0
    .wavefront_size: 64
  - .agpr_count:     0
    .args:
      - .address_space:  global
        .offset:         0
        .size:           8
        .value_kind:     global_buffer
      - .address_space:  global
        .offset:         8
        .size:           8
        .value_kind:     global_buffer
    .group_segment_fixed_size: 2048
    .kernarg_segment_align: 8
    .kernarg_segment_size: 16
    .language:       OpenCL C
    .language_version:
      - 2
      - 0
    .max_flat_workgroup_size: 256
    .name:           _Z20subtract_left_kernelIfii10custom_op2Lj256ELj1EEvPKT_PT1_
    .private_segment_fixed_size: 0
    .sgpr_count:     16
    .sgpr_spill_count: 0
    .symbol:         _Z20subtract_left_kernelIfii10custom_op2Lj256ELj1EEvPKT_PT1_.kd
    .uniform_work_group_size: 1
    .uses_dynamic_stack: false
    .vgpr_count:     4
    .vgpr_spill_count: 0
    .wavefront_size: 64
  - .agpr_count:     0
    .args:
      - .address_space:  global
        .offset:         0
        .size:           8
        .value_kind:     global_buffer
      - .address_space:  global
        .offset:         8
        .size:           8
        .value_kind:     global_buffer
    .group_segment_fixed_size: 1024
    .kernarg_segment_align: 8
    .kernarg_segment_size: 16
    .language:       OpenCL C
    .language_version:
      - 2
      - 0
    .max_flat_workgroup_size: 128
    .name:           _Z20subtract_left_kernelIibi10custom_op1Lj128ELj1EEvPKT_PT1_
    .private_segment_fixed_size: 0
    .sgpr_count:     16
    .sgpr_spill_count: 0
    .symbol:         _Z20subtract_left_kernelIibi10custom_op1Lj128ELj1EEvPKT_PT1_.kd
    .uniform_work_group_size: 1
    .uses_dynamic_stack: false
    .vgpr_count:     4
    .vgpr_spill_count: 0
    .wavefront_size: 64
  - .agpr_count:     0
    .args:
      - .address_space:  global
        .offset:         0
        .size:           8
        .value_kind:     global_buffer
      - .address_space:  global
        .offset:         8
        .size:           8
        .value_kind:     global_buffer
    .group_segment_fixed_size: 512
    .kernarg_segment_align: 8
    .kernarg_segment_size: 16
    .language:       OpenCL C
    .language_version:
      - 2
      - 0
    .max_flat_workgroup_size: 64
    .name:           _Z20subtract_left_kernelIjiiN6hipcub3SumELj64ELj1EEvPKT_PT1_
    .private_segment_fixed_size: 0
    .sgpr_count:     16
    .sgpr_spill_count: 0
    .symbol:         _Z20subtract_left_kernelIjiiN6hipcub3SumELj64ELj1EEvPKT_PT1_.kd
    .uniform_work_group_size: 1
    .uses_dynamic_stack: false
    .vgpr_count:     4
    .vgpr_spill_count: 0
    .wavefront_size: 64
  - .agpr_count:     0
    .args:
      - .address_space:  global
        .offset:         0
        .size:           8
        .value_kind:     global_buffer
      - .address_space:  global
        .offset:         8
        .size:           8
        .value_kind:     global_buffer
      - .address_space:  global
        .offset:         16
        .size:           8
        .value_kind:     global_buffer
    .group_segment_fixed_size: 936
    .kernarg_segment_align: 8
    .kernarg_segment_size: 24
    .language:       OpenCL C
    .language_version:
      - 2
      - 0
    .max_flat_workgroup_size: 234
    .name:           _Z33subtract_left_partial_tile_kernelIsbi10custom_op2Lj234ELj9EEvPKT_PiPT1_
    .private_segment_fixed_size: 0
    .sgpr_count:     16
    .sgpr_spill_count: 0
    .symbol:         _Z33subtract_left_partial_tile_kernelIsbi10custom_op2Lj234ELj9EEvPKT_PiPT1_.kd
    .uniform_work_group_size: 1
    .uses_dynamic_stack: false
    .vgpr_count:     16
    .vgpr_spill_count: 0
    .wavefront_size: 64
  - .agpr_count:     0
    .args:
      - .address_space:  global
        .offset:         0
        .size:           8
        .value_kind:     global_buffer
      - .address_space:  global
        .offset:         8
        .size:           8
        .value_kind:     global_buffer
      - .address_space:  global
        .offset:         16
        .size:           8
        .value_kind:     global_buffer
    .group_segment_fixed_size: 400
    .kernarg_segment_align: 8
    .kernarg_segment_size: 24
    .language:       OpenCL C
    .language_version:
      - 2
      - 0
    .max_flat_workgroup_size: 100
    .name:           _Z33subtract_left_partial_tile_kernelItii10custom_op1Lj100ELj3EEvPKT_PiPT1_
    .private_segment_fixed_size: 0
    .sgpr_count:     16
    .sgpr_spill_count: 0
    .symbol:         _Z33subtract_left_partial_tile_kernelItii10custom_op1Lj100ELj3EEvPKT_PiPT1_.kd
    .uniform_work_group_size: 1
    .uses_dynamic_stack: false
    .vgpr_count:     10
    .vgpr_spill_count: 0
    .wavefront_size: 64
  - .agpr_count:     0
    .args:
      - .address_space:  global
        .offset:         0
        .size:           8
        .value_kind:     global_buffer
      - .address_space:  global
        .offset:         8
        .size:           8
        .value_kind:     global_buffer
      - .address_space:  global
        .offset:         16
        .size:           8
        .value_kind:     global_buffer
    .group_segment_fixed_size: 7424
    .kernarg_segment_align: 8
    .kernarg_segment_size: 24
    .language:       OpenCL C
    .language_version:
      - 2
      - 0
    .max_flat_workgroup_size: 464
    .name:           _Z33subtract_left_partial_tile_kernelIdjjN6hipcub3SumELj464ELj2EEvPKT_PiPT1_
    .private_segment_fixed_size: 0
    .sgpr_count:     16
    .sgpr_spill_count: 0
    .symbol:         _Z33subtract_left_partial_tile_kernelIdjjN6hipcub3SumELj464ELj2EEvPKT_PiPT1_.kd
    .uniform_work_group_size: 1
    .uses_dynamic_stack: false
    .vgpr_count:     13
    .vgpr_spill_count: 0
    .wavefront_size: 64
  - .agpr_count:     0
    .args:
      - .address_space:  global
        .offset:         0
        .size:           8
        .value_kind:     global_buffer
      - .address_space:  global
        .offset:         8
        .size:           8
        .value_kind:     global_buffer
      - .address_space:  global
        .offset:         16
        .size:           8
        .value_kind:     global_buffer
    .group_segment_fixed_size: 528
    .kernarg_segment_align: 8
    .kernarg_segment_size: 24
    .language:       OpenCL C
    .language_version:
      - 2
      - 0
    .max_flat_workgroup_size: 33
    .name:           _Z33subtract_left_partial_tile_kernelIdii10custom_op2Lj33ELj5EEvPKT_PiPT1_
    .private_segment_fixed_size: 0
    .sgpr_count:     16
    .sgpr_spill_count: 0
    .symbol:         _Z33subtract_left_partial_tile_kernelIdii10custom_op2Lj33ELj5EEvPKT_PiPT1_.kd
    .uniform_work_group_size: 1
    .uses_dynamic_stack: false
    .vgpr_count:     22
    .vgpr_spill_count: 0
    .wavefront_size: 64
  - .agpr_count:     0
    .args:
      - .address_space:  global
        .offset:         0
        .size:           8
        .value_kind:     global_buffer
      - .address_space:  global
        .offset:         8
        .size:           8
        .value_kind:     global_buffer
      - .address_space:  global
        .offset:         16
        .size:           8
        .value_kind:     global_buffer
    .group_segment_fixed_size: 2048
    .kernarg_segment_align: 8
    .kernarg_segment_size: 24
    .language:       OpenCL C
    .language_version:
      - 2
      - 0
    .max_flat_workgroup_size: 512
    .name:           _Z33subtract_left_partial_tile_kernelIsss10custom_op1Lj512ELj8EEvPKT_PiPT1_
    .private_segment_fixed_size: 0
    .sgpr_count:     18
    .sgpr_spill_count: 0
    .symbol:         _Z33subtract_left_partial_tile_kernelIsss10custom_op1Lj512ELj8EEvPKT_PiPT1_.kd
    .uniform_work_group_size: 1
    .uses_dynamic_stack: false
    .vgpr_count:     16
    .vgpr_spill_count: 0
    .wavefront_size: 64
  - .agpr_count:     0
    .args:
      - .address_space:  global
        .offset:         0
        .size:           8
        .value_kind:     global_buffer
      - .address_space:  global
        .offset:         8
        .size:           8
        .value_kind:     global_buffer
      - .address_space:  global
        .offset:         16
        .size:           8
        .value_kind:     global_buffer
    .group_segment_fixed_size: 1024
    .kernarg_segment_align: 8
    .kernarg_segment_size: 24
    .language:       OpenCL C
    .language_version:
      - 2
      - 0
    .max_flat_workgroup_size: 256
    .name:           _Z33subtract_left_partial_tile_kernelIthhN6hipcub3SumELj256ELj7EEvPKT_PiPT1_
    .private_segment_fixed_size: 0
    .sgpr_count:     16
    .sgpr_spill_count: 0
    .symbol:         _Z33subtract_left_partial_tile_kernelIthhN6hipcub3SumELj256ELj7EEvPKT_PiPT1_.kd
    .uniform_work_group_size: 1
    .uses_dynamic_stack: false
    .vgpr_count:     16
    .vgpr_spill_count: 0
    .wavefront_size: 64
  - .agpr_count:     0
    .args:
      - .address_space:  global
        .offset:         0
        .size:           8
        .value_kind:     global_buffer
      - .address_space:  global
        .offset:         8
        .size:           8
        .value_kind:     global_buffer
      - .address_space:  global
        .offset:         16
        .size:           8
        .value_kind:     global_buffer
    .group_segment_fixed_size: 1024
    .kernarg_segment_align: 8
    .kernarg_segment_size: 24
    .language:       OpenCL C
    .language_version:
      - 2
      - 0
    .max_flat_workgroup_size: 128
    .name:           _Z33subtract_left_partial_tile_kernelIiss10custom_op2Lj128ELj4EEvPKT_PiPT1_
    .private_segment_fixed_size: 0
    .sgpr_count:     16
    .sgpr_spill_count: 0
    .symbol:         _Z33subtract_left_partial_tile_kernelIiss10custom_op2Lj128ELj4EEvPKT_PiPT1_.kd
    .uniform_work_group_size: 1
    .uses_dynamic_stack: false
    .vgpr_count:     11
    .vgpr_spill_count: 0
    .wavefront_size: 64
  - .agpr_count:     0
    .args:
      - .address_space:  global
        .offset:         0
        .size:           8
        .value_kind:     global_buffer
      - .address_space:  global
        .offset:         8
        .size:           8
        .value_kind:     global_buffer
      - .address_space:  global
        .offset:         16
        .size:           8
        .value_kind:     global_buffer
    .group_segment_fixed_size: 512
    .kernarg_segment_align: 8
    .kernarg_segment_size: 24
    .language:       OpenCL C
    .language_version:
      - 2
      - 0
    .max_flat_workgroup_size: 64
    .name:           _Z33subtract_left_partial_tile_kernelIicc10custom_op1Lj64ELj2EEvPKT_PiPT1_
    .private_segment_fixed_size: 0
    .sgpr_count:     16
    .sgpr_spill_count: 0
    .symbol:         _Z33subtract_left_partial_tile_kernelIicc10custom_op1Lj64ELj2EEvPKT_PiPT1_.kd
    .uniform_work_group_size: 1
    .uses_dynamic_stack: false
    .vgpr_count:     9
    .vgpr_spill_count: 0
    .wavefront_size: 64
  - .agpr_count:     0
    .args:
      - .address_space:  global
        .offset:         0
        .size:           8
        .value_kind:     global_buffer
      - .address_space:  global
        .offset:         8
        .size:           8
        .value_kind:     global_buffer
      - .address_space:  global
        .offset:         16
        .size:           8
        .value_kind:     global_buffer
    .group_segment_fixed_size: 510
    .kernarg_segment_align: 8
    .kernarg_segment_size: 24
    .language:       OpenCL C
    .language_version:
      - 2
      - 0
    .max_flat_workgroup_size: 255
    .name:           _Z33subtract_left_partial_tile_kernelIhbiN6hipcub3SumELj255ELj1EEvPKT_PiPT1_
    .private_segment_fixed_size: 0
    .sgpr_count:     16
    .sgpr_spill_count: 0
    .symbol:         _Z33subtract_left_partial_tile_kernelIhbiN6hipcub3SumELj255ELj1EEvPKT_PiPT1_.kd
    .uniform_work_group_size: 1
    .uses_dynamic_stack: false
    .vgpr_count:     3
    .vgpr_spill_count: 0
    .wavefront_size: 64
  - .agpr_count:     0
    .args:
      - .address_space:  global
        .offset:         0
        .size:           8
        .value_kind:     global_buffer
      - .address_space:  global
        .offset:         8
        .size:           8
        .value_kind:     global_buffer
      - .address_space:  global
        .offset:         16
        .size:           8
        .value_kind:     global_buffer
    .group_segment_fixed_size: 1296
    .kernarg_segment_align: 8
    .kernarg_segment_size: 24
    .language:       OpenCL C
    .language_version:
      - 2
      - 0
    .max_flat_workgroup_size: 162
    .name:           _Z33subtract_left_partial_tile_kernelIjxx10custom_op2Lj162ELj1EEvPKT_PiPT1_
    .private_segment_fixed_size: 0
    .sgpr_count:     16
    .sgpr_spill_count: 0
    .symbol:         _Z33subtract_left_partial_tile_kernelIjxx10custom_op2Lj162ELj1EEvPKT_PiPT1_.kd
    .uniform_work_group_size: 1
    .uses_dynamic_stack: false
    .vgpr_count:     4
    .vgpr_spill_count: 0
    .wavefront_size: 64
  - .agpr_count:     0
    .args:
      - .address_space:  global
        .offset:         0
        .size:           8
        .value_kind:     global_buffer
      - .address_space:  global
        .offset:         8
        .size:           8
        .value_kind:     global_buffer
      - .address_space:  global
        .offset:         16
        .size:           8
        .value_kind:     global_buffer
    .group_segment_fixed_size: 8160
    .kernarg_segment_align: 8
    .kernarg_segment_size: 24
    .language:       OpenCL C
    .language_version:
      - 2
      - 0
    .max_flat_workgroup_size: 510
    .name:           _Z33subtract_left_partial_tile_kernelIxcc10custom_op1Lj510ELj1EEvPKT_PiPT1_
    .private_segment_fixed_size: 0
    .sgpr_count:     16
    .sgpr_spill_count: 0
    .symbol:         _Z33subtract_left_partial_tile_kernelIxcc10custom_op1Lj510ELj1EEvPKT_PiPT1_.kd
    .uniform_work_group_size: 1
    .uses_dynamic_stack: false
    .vgpr_count:     6
    .vgpr_spill_count: 0
    .wavefront_size: 64
  - .agpr_count:     0
    .args:
      - .address_space:  global
        .offset:         0
        .size:           8
        .value_kind:     global_buffer
      - .address_space:  global
        .offset:         8
        .size:           8
        .value_kind:     global_buffer
      - .address_space:  global
        .offset:         16
        .size:           8
        .value_kind:     global_buffer
    .group_segment_fixed_size: 296
    .kernarg_segment_align: 8
    .kernarg_segment_size: 24
    .language:       OpenCL C
    .language_version:
      - 2
      - 0
    .max_flat_workgroup_size: 37
    .name:           _Z33subtract_left_partial_tile_kernelIfiiN6hipcub3SumELj37ELj1EEvPKT_PiPT1_
    .private_segment_fixed_size: 0
    .sgpr_count:     18
    .sgpr_spill_count: 0
    .symbol:         _Z33subtract_left_partial_tile_kernelIfiiN6hipcub3SumELj37ELj1EEvPKT_PiPT1_.kd
    .uniform_work_group_size: 1
    .uses_dynamic_stack: false
    .vgpr_count:     4
    .vgpr_spill_count: 0
    .wavefront_size: 64
  - .agpr_count:     0
    .args:
      - .address_space:  global
        .offset:         0
        .size:           8
        .value_kind:     global_buffer
      - .address_space:  global
        .offset:         8
        .size:           8
        .value_kind:     global_buffer
      - .address_space:  global
        .offset:         16
        .size:           8
        .value_kind:     global_buffer
    .group_segment_fixed_size: 2048
    .kernarg_segment_align: 8
    .kernarg_segment_size: 24
    .language:       OpenCL C
    .language_version:
      - 2
      - 0
    .max_flat_workgroup_size: 256
    .name:           _Z33subtract_left_partial_tile_kernelIibi10custom_op1Lj256ELj1EEvPKT_PiPT1_
    .private_segment_fixed_size: 0
    .sgpr_count:     18
    .sgpr_spill_count: 0
    .symbol:         _Z33subtract_left_partial_tile_kernelIibi10custom_op1Lj256ELj1EEvPKT_PiPT1_.kd
    .uniform_work_group_size: 1
    .uses_dynamic_stack: false
    .vgpr_count:     4
    .vgpr_spill_count: 0
    .wavefront_size: 64
  - .agpr_count:     0
    .args:
      - .address_space:  global
        .offset:         0
        .size:           8
        .value_kind:     global_buffer
      - .address_space:  global
        .offset:         8
        .size:           8
        .value_kind:     global_buffer
      - .address_space:  global
        .offset:         16
        .size:           8
        .value_kind:     global_buffer
    .group_segment_fixed_size: 1024
    .kernarg_segment_align: 8
    .kernarg_segment_size: 24
    .language:       OpenCL C
    .language_version:
      - 2
      - 0
    .max_flat_workgroup_size: 256
    .name:           _Z33subtract_left_partial_tile_kernelI12hip_bfloat16ii10custom_op2Lj256ELj1EEvPKT_PiPT1_
    .private_segment_fixed_size: 0
    .sgpr_count:     16
    .sgpr_spill_count: 0
    .symbol:         _Z33subtract_left_partial_tile_kernelI12hip_bfloat16ii10custom_op2Lj256ELj1EEvPKT_PiPT1_.kd
    .uniform_work_group_size: 1
    .uses_dynamic_stack: false
    .vgpr_count:     7
    .vgpr_spill_count: 0
    .wavefront_size: 64
  - .agpr_count:     0
    .args:
      - .address_space:  global
        .offset:         0
        .size:           8
        .value_kind:     global_buffer
      - .address_space:  global
        .offset:         8
        .size:           8
        .value_kind:     global_buffer
      - .address_space:  global
        .offset:         16
        .size:           8
        .value_kind:     global_buffer
    .group_segment_fixed_size: 1024
    .kernarg_segment_align: 8
    .kernarg_segment_size: 24
    .language:       OpenCL C
    .language_version:
      - 2
      - 0
    .max_flat_workgroup_size: 256
    .name:           _Z33subtract_left_partial_tile_kernelI6__halfii10custom_op1Lj256ELj1EEvPKT_PiPT1_
    .private_segment_fixed_size: 0
    .sgpr_count:     16
    .sgpr_spill_count: 0
    .symbol:         _Z33subtract_left_partial_tile_kernelI6__halfii10custom_op1Lj256ELj1EEvPKT_PiPT1_.kd
    .uniform_work_group_size: 1
    .uses_dynamic_stack: false
    .vgpr_count:     4
    .vgpr_spill_count: 0
    .wavefront_size: 64
  - .agpr_count:     0
    .args:
      - .address_space:  global
        .offset:         0
        .size:           8
        .value_kind:     global_buffer
      - .address_space:  global
        .offset:         8
        .size:           8
        .value_kind:     global_buffer
      - .address_space:  global
        .offset:         16
        .size:           8
        .value_kind:     global_buffer
    .group_segment_fixed_size: 2048
    .kernarg_segment_align: 8
    .kernarg_segment_size: 24
    .language:       OpenCL C
    .language_version:
      - 2
      - 0
    .max_flat_workgroup_size: 256
    .name:           _Z33subtract_left_partial_tile_kernelIfii10custom_op2Lj256ELj1EEvPKT_PiPT1_
    .private_segment_fixed_size: 0
    .sgpr_count:     18
    .sgpr_spill_count: 0
    .symbol:         _Z33subtract_left_partial_tile_kernelIfii10custom_op2Lj256ELj1EEvPKT_PiPT1_.kd
    .uniform_work_group_size: 1
    .uses_dynamic_stack: false
    .vgpr_count:     4
    .vgpr_spill_count: 0
    .wavefront_size: 64
  - .agpr_count:     0
    .args:
      - .address_space:  global
        .offset:         0
        .size:           8
        .value_kind:     global_buffer
      - .address_space:  global
        .offset:         8
        .size:           8
        .value_kind:     global_buffer
      - .address_space:  global
        .offset:         16
        .size:           8
        .value_kind:     global_buffer
    .group_segment_fixed_size: 1024
    .kernarg_segment_align: 8
    .kernarg_segment_size: 24
    .language:       OpenCL C
    .language_version:
      - 2
      - 0
    .max_flat_workgroup_size: 128
    .name:           _Z33subtract_left_partial_tile_kernelIibi10custom_op1Lj128ELj1EEvPKT_PiPT1_
    .private_segment_fixed_size: 0
    .sgpr_count:     18
    .sgpr_spill_count: 0
    .symbol:         _Z33subtract_left_partial_tile_kernelIibi10custom_op1Lj128ELj1EEvPKT_PiPT1_.kd
    .uniform_work_group_size: 1
    .uses_dynamic_stack: false
    .vgpr_count:     4
    .vgpr_spill_count: 0
    .wavefront_size: 64
  - .agpr_count:     0
    .args:
      - .address_space:  global
        .offset:         0
        .size:           8
        .value_kind:     global_buffer
      - .address_space:  global
        .offset:         8
        .size:           8
        .value_kind:     global_buffer
      - .address_space:  global
        .offset:         16
        .size:           8
        .value_kind:     global_buffer
    .group_segment_fixed_size: 512
    .kernarg_segment_align: 8
    .kernarg_segment_size: 24
    .language:       OpenCL C
    .language_version:
      - 2
      - 0
    .max_flat_workgroup_size: 64
    .name:           _Z33subtract_left_partial_tile_kernelIjiiN6hipcub3SumELj64ELj1EEvPKT_PiPT1_
    .private_segment_fixed_size: 0
    .sgpr_count:     18
    .sgpr_spill_count: 0
    .symbol:         _Z33subtract_left_partial_tile_kernelIjiiN6hipcub3SumELj64ELj1EEvPKT_PiPT1_.kd
    .uniform_work_group_size: 1
    .uses_dynamic_stack: false
    .vgpr_count:     4
    .vgpr_spill_count: 0
    .wavefront_size: 64
  - .agpr_count:     0
    .args:
      - .address_space:  global
        .offset:         0
        .size:           8
        .value_kind:     global_buffer
      - .address_space:  global
        .offset:         8
        .size:           8
        .value_kind:     global_buffer
    .group_segment_fixed_size: 936
    .kernarg_segment_align: 8
    .kernarg_segment_size: 16
    .language:       OpenCL C
    .language_version:
      - 2
      - 0
    .max_flat_workgroup_size: 234
    .name:           _Z21subtract_right_kernelIsbi10custom_op2Lj234ELj9EEvPKT_PT1_
    .private_segment_fixed_size: 0
    .sgpr_count:     14
    .sgpr_spill_count: 0
    .symbol:         _Z21subtract_right_kernelIsbi10custom_op2Lj234ELj9EEvPKT_PT1_.kd
    .uniform_work_group_size: 1
    .uses_dynamic_stack: false
    .vgpr_count:     21
    .vgpr_spill_count: 0
    .wavefront_size: 64
  - .agpr_count:     0
    .args:
      - .address_space:  global
        .offset:         0
        .size:           8
        .value_kind:     global_buffer
      - .address_space:  global
        .offset:         8
        .size:           8
        .value_kind:     global_buffer
    .group_segment_fixed_size: 400
    .kernarg_segment_align: 8
    .kernarg_segment_size: 16
    .language:       OpenCL C
    .language_version:
      - 2
      - 0
    .max_flat_workgroup_size: 100
    .name:           _Z21subtract_right_kernelItii10custom_op1Lj100ELj3EEvPKT_PT1_
    .private_segment_fixed_size: 0
    .sgpr_count:     14
    .sgpr_spill_count: 0
    .symbol:         _Z21subtract_right_kernelItii10custom_op1Lj100ELj3EEvPKT_PT1_.kd
    .uniform_work_group_size: 1
    .uses_dynamic_stack: false
    .vgpr_count:     8
    .vgpr_spill_count: 0
    .wavefront_size: 64
  - .agpr_count:     0
    .args:
      - .address_space:  global
        .offset:         0
        .size:           8
        .value_kind:     global_buffer
      - .address_space:  global
        .offset:         8
        .size:           8
        .value_kind:     global_buffer
    .group_segment_fixed_size: 7424
    .kernarg_segment_align: 8
    .kernarg_segment_size: 16
    .language:       OpenCL C
    .language_version:
      - 2
      - 0
    .max_flat_workgroup_size: 464
    .name:           _Z21subtract_right_kernelIdjjN6hipcub3SumELj464ELj2EEvPKT_PT1_
    .private_segment_fixed_size: 0
    .sgpr_count:     14
    .sgpr_spill_count: 0
    .symbol:         _Z21subtract_right_kernelIdjjN6hipcub3SumELj464ELj2EEvPKT_PT1_.kd
    .uniform_work_group_size: 1
    .uses_dynamic_stack: false
    .vgpr_count:     12
    .vgpr_spill_count: 0
    .wavefront_size: 64
  - .agpr_count:     0
    .args:
      - .address_space:  global
        .offset:         0
        .size:           8
        .value_kind:     global_buffer
      - .address_space:  global
        .offset:         8
        .size:           8
        .value_kind:     global_buffer
    .group_segment_fixed_size: 528
    .kernarg_segment_align: 8
    .kernarg_segment_size: 16
    .language:       OpenCL C
    .language_version:
      - 2
      - 0
    .max_flat_workgroup_size: 33
    .name:           _Z21subtract_right_kernelIdii10custom_op2Lj33ELj5EEvPKT_PT1_
    .private_segment_fixed_size: 0
    .sgpr_count:     16
    .sgpr_spill_count: 0
    .symbol:         _Z21subtract_right_kernelIdii10custom_op2Lj33ELj5EEvPKT_PT1_.kd
    .uniform_work_group_size: 1
    .uses_dynamic_stack: false
    .vgpr_count:     22
    .vgpr_spill_count: 0
    .wavefront_size: 64
  - .agpr_count:     0
    .args:
      - .address_space:  global
        .offset:         0
        .size:           8
        .value_kind:     global_buffer
      - .address_space:  global
        .offset:         8
        .size:           8
        .value_kind:     global_buffer
    .group_segment_fixed_size: 2048
    .kernarg_segment_align: 8
    .kernarg_segment_size: 16
    .language:       OpenCL C
    .language_version:
      - 2
      - 0
    .max_flat_workgroup_size: 512
    .name:           _Z21subtract_right_kernelIsss10custom_op1Lj512ELj8EEvPKT_PT1_
    .private_segment_fixed_size: 0
    .sgpr_count:     16
    .sgpr_spill_count: 0
    .symbol:         _Z21subtract_right_kernelIsss10custom_op1Lj512ELj8EEvPKT_PT1_.kd
    .uniform_work_group_size: 1
    .uses_dynamic_stack: false
    .vgpr_count:     14
    .vgpr_spill_count: 0
    .wavefront_size: 64
  - .agpr_count:     0
    .args:
      - .address_space:  global
        .offset:         0
        .size:           8
        .value_kind:     global_buffer
      - .address_space:  global
        .offset:         8
        .size:           8
        .value_kind:     global_buffer
    .group_segment_fixed_size: 1024
    .kernarg_segment_align: 8
    .kernarg_segment_size: 16
    .language:       OpenCL C
    .language_version:
      - 2
      - 0
    .max_flat_workgroup_size: 256
    .name:           _Z21subtract_right_kernelIthhN6hipcub3SumELj256ELj7EEvPKT_PT1_
    .private_segment_fixed_size: 0
    .sgpr_count:     14
    .sgpr_spill_count: 0
    .symbol:         _Z21subtract_right_kernelIthhN6hipcub3SumELj256ELj7EEvPKT_PT1_.kd
    .uniform_work_group_size: 1
    .uses_dynamic_stack: false
    .vgpr_count:     15
    .vgpr_spill_count: 0
    .wavefront_size: 64
  - .agpr_count:     0
    .args:
      - .address_space:  global
        .offset:         0
        .size:           8
        .value_kind:     global_buffer
      - .address_space:  global
        .offset:         8
        .size:           8
        .value_kind:     global_buffer
    .group_segment_fixed_size: 1024
    .kernarg_segment_align: 8
    .kernarg_segment_size: 16
    .language:       OpenCL C
    .language_version:
      - 2
      - 0
    .max_flat_workgroup_size: 128
    .name:           _Z21subtract_right_kernelIiss10custom_op2Lj128ELj4EEvPKT_PT1_
    .private_segment_fixed_size: 0
    .sgpr_count:     14
    .sgpr_spill_count: 0
    .symbol:         _Z21subtract_right_kernelIiss10custom_op2Lj128ELj4EEvPKT_PT1_.kd
    .uniform_work_group_size: 1
    .uses_dynamic_stack: false
    .vgpr_count:     12
    .vgpr_spill_count: 0
    .wavefront_size: 64
  - .agpr_count:     0
    .args:
      - .address_space:  global
        .offset:         0
        .size:           8
        .value_kind:     global_buffer
      - .address_space:  global
        .offset:         8
        .size:           8
        .value_kind:     global_buffer
    .group_segment_fixed_size: 512
    .kernarg_segment_align: 8
    .kernarg_segment_size: 16
    .language:       OpenCL C
    .language_version:
      - 2
      - 0
    .max_flat_workgroup_size: 64
    .name:           _Z21subtract_right_kernelIicc10custom_op1Lj64ELj2EEvPKT_PT1_
    .private_segment_fixed_size: 0
    .sgpr_count:     14
    .sgpr_spill_count: 0
    .symbol:         _Z21subtract_right_kernelIicc10custom_op1Lj64ELj2EEvPKT_PT1_.kd
    .uniform_work_group_size: 1
    .uses_dynamic_stack: false
    .vgpr_count:     7
    .vgpr_spill_count: 0
    .wavefront_size: 64
  - .agpr_count:     0
    .args:
      - .address_space:  global
        .offset:         0
        .size:           8
        .value_kind:     global_buffer
      - .address_space:  global
        .offset:         8
        .size:           8
        .value_kind:     global_buffer
    .group_segment_fixed_size: 510
    .kernarg_segment_align: 8
    .kernarg_segment_size: 16
    .language:       OpenCL C
    .language_version:
      - 2
      - 0
    .max_flat_workgroup_size: 255
    .name:           _Z21subtract_right_kernelIhbiN6hipcub3SumELj255ELj1EEvPKT_PT1_
    .private_segment_fixed_size: 0
    .sgpr_count:     14
    .sgpr_spill_count: 0
    .symbol:         _Z21subtract_right_kernelIhbiN6hipcub3SumELj255ELj1EEvPKT_PT1_.kd
    .uniform_work_group_size: 1
    .uses_dynamic_stack: false
    .vgpr_count:     3
    .vgpr_spill_count: 0
    .wavefront_size: 64
  - .agpr_count:     0
    .args:
      - .address_space:  global
        .offset:         0
        .size:           8
        .value_kind:     global_buffer
      - .address_space:  global
        .offset:         8
        .size:           8
        .value_kind:     global_buffer
    .group_segment_fixed_size: 1296
    .kernarg_segment_align: 8
    .kernarg_segment_size: 16
    .language:       OpenCL C
    .language_version:
      - 2
      - 0
    .max_flat_workgroup_size: 162
    .name:           _Z21subtract_right_kernelIjxx10custom_op2Lj162ELj1EEvPKT_PT1_
    .private_segment_fixed_size: 0
    .sgpr_count:     14
    .sgpr_spill_count: 0
    .symbol:         _Z21subtract_right_kernelIjxx10custom_op2Lj162ELj1EEvPKT_PT1_.kd
    .uniform_work_group_size: 1
    .uses_dynamic_stack: false
    .vgpr_count:     4
    .vgpr_spill_count: 0
    .wavefront_size: 64
  - .agpr_count:     0
    .args:
      - .address_space:  global
        .offset:         0
        .size:           8
        .value_kind:     global_buffer
      - .address_space:  global
        .offset:         8
        .size:           8
        .value_kind:     global_buffer
    .group_segment_fixed_size: 8160
    .kernarg_segment_align: 8
    .kernarg_segment_size: 16
    .language:       OpenCL C
    .language_version:
      - 2
      - 0
    .max_flat_workgroup_size: 510
    .name:           _Z21subtract_right_kernelIxcc10custom_op1Lj510ELj1EEvPKT_PT1_
    .private_segment_fixed_size: 0
    .sgpr_count:     14
    .sgpr_spill_count: 0
    .symbol:         _Z21subtract_right_kernelIxcc10custom_op1Lj510ELj1EEvPKT_PT1_.kd
    .uniform_work_group_size: 1
    .uses_dynamic_stack: false
    .vgpr_count:     6
    .vgpr_spill_count: 0
    .wavefront_size: 64
  - .agpr_count:     0
    .args:
      - .address_space:  global
        .offset:         0
        .size:           8
        .value_kind:     global_buffer
      - .address_space:  global
        .offset:         8
        .size:           8
        .value_kind:     global_buffer
    .group_segment_fixed_size: 296
    .kernarg_segment_align: 8
    .kernarg_segment_size: 16
    .language:       OpenCL C
    .language_version:
      - 2
      - 0
    .max_flat_workgroup_size: 37
    .name:           _Z21subtract_right_kernelIfiiN6hipcub3SumELj37ELj1EEvPKT_PT1_
    .private_segment_fixed_size: 0
    .sgpr_count:     16
    .sgpr_spill_count: 0
    .symbol:         _Z21subtract_right_kernelIfiiN6hipcub3SumELj37ELj1EEvPKT_PT1_.kd
    .uniform_work_group_size: 1
    .uses_dynamic_stack: false
    .vgpr_count:     4
    .vgpr_spill_count: 0
    .wavefront_size: 64
  - .agpr_count:     0
    .args:
      - .address_space:  global
        .offset:         0
        .size:           8
        .value_kind:     global_buffer
      - .address_space:  global
        .offset:         8
        .size:           8
        .value_kind:     global_buffer
    .group_segment_fixed_size: 2048
    .kernarg_segment_align: 8
    .kernarg_segment_size: 16
    .language:       OpenCL C
    .language_version:
      - 2
      - 0
    .max_flat_workgroup_size: 256
    .name:           _Z21subtract_right_kernelIibi10custom_op1Lj256ELj1EEvPKT_PT1_
    .private_segment_fixed_size: 0
    .sgpr_count:     16
    .sgpr_spill_count: 0
    .symbol:         _Z21subtract_right_kernelIibi10custom_op1Lj256ELj1EEvPKT_PT1_.kd
    .uniform_work_group_size: 1
    .uses_dynamic_stack: false
    .vgpr_count:     3
    .vgpr_spill_count: 0
    .wavefront_size: 64
  - .agpr_count:     0
    .args:
      - .address_space:  global
        .offset:         0
        .size:           8
        .value_kind:     global_buffer
      - .address_space:  global
        .offset:         8
        .size:           8
        .value_kind:     global_buffer
    .group_segment_fixed_size: 1024
    .kernarg_segment_align: 8
    .kernarg_segment_size: 16
    .language:       OpenCL C
    .language_version:
      - 2
      - 0
    .max_flat_workgroup_size: 256
    .name:           _Z21subtract_right_kernelI12hip_bfloat16ii10custom_op2Lj256ELj1EEvPKT_PT1_
    .private_segment_fixed_size: 0
    .sgpr_count:     15
    .sgpr_spill_count: 0
    .symbol:         _Z21subtract_right_kernelI12hip_bfloat16ii10custom_op2Lj256ELj1EEvPKT_PT1_.kd
    .uniform_work_group_size: 1
    .uses_dynamic_stack: false
    .vgpr_count:     7
    .vgpr_spill_count: 0
    .wavefront_size: 64
  - .agpr_count:     0
    .args:
      - .address_space:  global
        .offset:         0
        .size:           8
        .value_kind:     global_buffer
      - .address_space:  global
        .offset:         8
        .size:           8
        .value_kind:     global_buffer
    .group_segment_fixed_size: 1024
    .kernarg_segment_align: 8
    .kernarg_segment_size: 16
    .language:       OpenCL C
    .language_version:
      - 2
      - 0
    .max_flat_workgroup_size: 256
    .name:           _Z21subtract_right_kernelI6__halfii10custom_op1Lj256ELj1EEvPKT_PT1_
    .private_segment_fixed_size: 0
    .sgpr_count:     14
    .sgpr_spill_count: 0
    .symbol:         _Z21subtract_right_kernelI6__halfii10custom_op1Lj256ELj1EEvPKT_PT1_.kd
    .uniform_work_group_size: 1
    .uses_dynamic_stack: false
    .vgpr_count:     4
    .vgpr_spill_count: 0
    .wavefront_size: 64
  - .agpr_count:     0
    .args:
      - .address_space:  global
        .offset:         0
        .size:           8
        .value_kind:     global_buffer
      - .address_space:  global
        .offset:         8
        .size:           8
        .value_kind:     global_buffer
    .group_segment_fixed_size: 2048
    .kernarg_segment_align: 8
    .kernarg_segment_size: 16
    .language:       OpenCL C
    .language_version:
      - 2
      - 0
    .max_flat_workgroup_size: 256
    .name:           _Z21subtract_right_kernelIfii10custom_op2Lj256ELj1EEvPKT_PT1_
    .private_segment_fixed_size: 0
    .sgpr_count:     12
    .sgpr_spill_count: 0
    .symbol:         _Z21subtract_right_kernelIfii10custom_op2Lj256ELj1EEvPKT_PT1_.kd
    .uniform_work_group_size: 1
    .uses_dynamic_stack: false
    .vgpr_count:     4
    .vgpr_spill_count: 0
    .wavefront_size: 64
  - .agpr_count:     0
    .args:
      - .address_space:  global
        .offset:         0
        .size:           8
        .value_kind:     global_buffer
      - .address_space:  global
        .offset:         8
        .size:           8
        .value_kind:     global_buffer
    .group_segment_fixed_size: 1024
    .kernarg_segment_align: 8
    .kernarg_segment_size: 16
    .language:       OpenCL C
    .language_version:
      - 2
      - 0
    .max_flat_workgroup_size: 128
    .name:           _Z21subtract_right_kernelIibi10custom_op1Lj128ELj1EEvPKT_PT1_
    .private_segment_fixed_size: 0
    .sgpr_count:     16
    .sgpr_spill_count: 0
    .symbol:         _Z21subtract_right_kernelIibi10custom_op1Lj128ELj1EEvPKT_PT1_.kd
    .uniform_work_group_size: 1
    .uses_dynamic_stack: false
    .vgpr_count:     3
    .vgpr_spill_count: 0
    .wavefront_size: 64
  - .agpr_count:     0
    .args:
      - .address_space:  global
        .offset:         0
        .size:           8
        .value_kind:     global_buffer
      - .address_space:  global
        .offset:         8
        .size:           8
        .value_kind:     global_buffer
    .group_segment_fixed_size: 512
    .kernarg_segment_align: 8
    .kernarg_segment_size: 16
    .language:       OpenCL C
    .language_version:
      - 2
      - 0
    .max_flat_workgroup_size: 64
    .name:           _Z21subtract_right_kernelIjiiN6hipcub3SumELj64ELj1EEvPKT_PT1_
    .private_segment_fixed_size: 0
    .sgpr_count:     14
    .sgpr_spill_count: 0
    .symbol:         _Z21subtract_right_kernelIjiiN6hipcub3SumELj64ELj1EEvPKT_PT1_.kd
    .uniform_work_group_size: 1
    .uses_dynamic_stack: false
    .vgpr_count:     4
    .vgpr_spill_count: 0
    .wavefront_size: 64
  - .agpr_count:     0
    .args:
      - .address_space:  global
        .offset:         0
        .size:           8
        .value_kind:     global_buffer
      - .address_space:  global
        .offset:         8
        .size:           8
        .value_kind:     global_buffer
      - .address_space:  global
        .offset:         16
        .size:           8
        .value_kind:     global_buffer
    .group_segment_fixed_size: 936
    .kernarg_segment_align: 8
    .kernarg_segment_size: 24
    .language:       OpenCL C
    .language_version:
      - 2
      - 0
    .max_flat_workgroup_size: 234
    .name:           _Z34subtract_right_partial_tile_kernelIsbi10custom_op2Lj234ELj9EEvPKT_PiPT1_
    .private_segment_fixed_size: 0
    .sgpr_count:     17
    .sgpr_spill_count: 0
    .symbol:         _Z34subtract_right_partial_tile_kernelIsbi10custom_op2Lj234ELj9EEvPKT_PiPT1_.kd
    .uniform_work_group_size: 1
    .uses_dynamic_stack: false
    .vgpr_count:     28
    .vgpr_spill_count: 0
    .wavefront_size: 64
  - .agpr_count:     0
    .args:
      - .address_space:  global
        .offset:         0
        .size:           8
        .value_kind:     global_buffer
      - .address_space:  global
        .offset:         8
        .size:           8
        .value_kind:     global_buffer
      - .address_space:  global
        .offset:         16
        .size:           8
        .value_kind:     global_buffer
    .group_segment_fixed_size: 400
    .kernarg_segment_align: 8
    .kernarg_segment_size: 24
    .language:       OpenCL C
    .language_version:
      - 2
      - 0
    .max_flat_workgroup_size: 100
    .name:           _Z34subtract_right_partial_tile_kernelItii10custom_op1Lj100ELj3EEvPKT_PiPT1_
    .private_segment_fixed_size: 0
    .sgpr_count:     16
    .sgpr_spill_count: 0
    .symbol:         _Z34subtract_right_partial_tile_kernelItii10custom_op1Lj100ELj3EEvPKT_PiPT1_.kd
    .uniform_work_group_size: 1
    .uses_dynamic_stack: false
    .vgpr_count:     11
    .vgpr_spill_count: 0
    .wavefront_size: 64
  - .agpr_count:     0
    .args:
      - .address_space:  global
        .offset:         0
        .size:           8
        .value_kind:     global_buffer
      - .address_space:  global
        .offset:         8
        .size:           8
        .value_kind:     global_buffer
      - .address_space:  global
        .offset:         16
        .size:           8
        .value_kind:     global_buffer
    .group_segment_fixed_size: 7424
    .kernarg_segment_align: 8
    .kernarg_segment_size: 24
    .language:       OpenCL C
    .language_version:
      - 2
      - 0
    .max_flat_workgroup_size: 464
    .name:           _Z34subtract_right_partial_tile_kernelIdjjN6hipcub3SumELj464ELj2EEvPKT_PiPT1_
    .private_segment_fixed_size: 0
    .sgpr_count:     16
    .sgpr_spill_count: 0
    .symbol:         _Z34subtract_right_partial_tile_kernelIdjjN6hipcub3SumELj464ELj2EEvPKT_PiPT1_.kd
    .uniform_work_group_size: 1
    .uses_dynamic_stack: false
    .vgpr_count:     10
    .vgpr_spill_count: 0
    .wavefront_size: 64
  - .agpr_count:     0
    .args:
      - .address_space:  global
        .offset:         0
        .size:           8
        .value_kind:     global_buffer
      - .address_space:  global
        .offset:         8
        .size:           8
        .value_kind:     global_buffer
      - .address_space:  global
        .offset:         16
        .size:           8
        .value_kind:     global_buffer
    .group_segment_fixed_size: 528
    .kernarg_segment_align: 8
    .kernarg_segment_size: 24
    .language:       OpenCL C
    .language_version:
      - 2
      - 0
    .max_flat_workgroup_size: 33
    .name:           _Z34subtract_right_partial_tile_kernelIdii10custom_op2Lj33ELj5EEvPKT_PiPT1_
    .private_segment_fixed_size: 0
    .sgpr_count:     16
    .sgpr_spill_count: 0
    .symbol:         _Z34subtract_right_partial_tile_kernelIdii10custom_op2Lj33ELj5EEvPKT_PiPT1_.kd
    .uniform_work_group_size: 1
    .uses_dynamic_stack: false
    .vgpr_count:     25
    .vgpr_spill_count: 0
    .wavefront_size: 64
  - .agpr_count:     0
    .args:
      - .address_space:  global
        .offset:         0
        .size:           8
        .value_kind:     global_buffer
      - .address_space:  global
        .offset:         8
        .size:           8
        .value_kind:     global_buffer
      - .address_space:  global
        .offset:         16
        .size:           8
        .value_kind:     global_buffer
    .group_segment_fixed_size: 2048
    .kernarg_segment_align: 8
    .kernarg_segment_size: 24
    .language:       OpenCL C
    .language_version:
      - 2
      - 0
    .max_flat_workgroup_size: 512
    .name:           _Z34subtract_right_partial_tile_kernelIsss10custom_op1Lj512ELj8EEvPKT_PiPT1_
    .private_segment_fixed_size: 0
    .sgpr_count:     17
    .sgpr_spill_count: 0
    .symbol:         _Z34subtract_right_partial_tile_kernelIsss10custom_op1Lj512ELj8EEvPKT_PiPT1_.kd
    .uniform_work_group_size: 1
    .uses_dynamic_stack: false
    .vgpr_count:     23
    .vgpr_spill_count: 0
    .wavefront_size: 64
  - .agpr_count:     0
    .args:
      - .address_space:  global
        .offset:         0
        .size:           8
        .value_kind:     global_buffer
      - .address_space:  global
        .offset:         8
        .size:           8
        .value_kind:     global_buffer
      - .address_space:  global
        .offset:         16
        .size:           8
        .value_kind:     global_buffer
    .group_segment_fixed_size: 1024
    .kernarg_segment_align: 8
    .kernarg_segment_size: 24
    .language:       OpenCL C
    .language_version:
      - 2
      - 0
    .max_flat_workgroup_size: 256
    .name:           _Z34subtract_right_partial_tile_kernelIthhN6hipcub3SumELj256ELj7EEvPKT_PiPT1_
    .private_segment_fixed_size: 0
    .sgpr_count:     16
    .sgpr_spill_count: 0
    .symbol:         _Z34subtract_right_partial_tile_kernelIthhN6hipcub3SumELj256ELj7EEvPKT_PiPT1_.kd
    .uniform_work_group_size: 1
    .uses_dynamic_stack: false
    .vgpr_count:     24
    .vgpr_spill_count: 0
    .wavefront_size: 64
  - .agpr_count:     0
    .args:
      - .address_space:  global
        .offset:         0
        .size:           8
        .value_kind:     global_buffer
      - .address_space:  global
        .offset:         8
        .size:           8
        .value_kind:     global_buffer
      - .address_space:  global
        .offset:         16
        .size:           8
        .value_kind:     global_buffer
    .group_segment_fixed_size: 1024
    .kernarg_segment_align: 8
    .kernarg_segment_size: 24
    .language:       OpenCL C
    .language_version:
      - 2
      - 0
    .max_flat_workgroup_size: 128
    .name:           _Z34subtract_right_partial_tile_kernelIiss10custom_op2Lj128ELj4EEvPKT_PiPT1_
    .private_segment_fixed_size: 0
    .sgpr_count:     16
    .sgpr_spill_count: 0
    .symbol:         _Z34subtract_right_partial_tile_kernelIiss10custom_op2Lj128ELj4EEvPKT_PiPT1_.kd
    .uniform_work_group_size: 1
    .uses_dynamic_stack: false
    .vgpr_count:     13
    .vgpr_spill_count: 0
    .wavefront_size: 64
  - .agpr_count:     0
    .args:
      - .address_space:  global
        .offset:         0
        .size:           8
        .value_kind:     global_buffer
      - .address_space:  global
        .offset:         8
        .size:           8
        .value_kind:     global_buffer
      - .address_space:  global
        .offset:         16
        .size:           8
        .value_kind:     global_buffer
    .group_segment_fixed_size: 512
    .kernarg_segment_align: 8
    .kernarg_segment_size: 24
    .language:       OpenCL C
    .language_version:
      - 2
      - 0
    .max_flat_workgroup_size: 64
    .name:           _Z34subtract_right_partial_tile_kernelIicc10custom_op1Lj64ELj2EEvPKT_PiPT1_
    .private_segment_fixed_size: 0
    .sgpr_count:     16
    .sgpr_spill_count: 0
    .symbol:         _Z34subtract_right_partial_tile_kernelIicc10custom_op1Lj64ELj2EEvPKT_PiPT1_.kd
    .uniform_work_group_size: 1
    .uses_dynamic_stack: false
    .vgpr_count:     8
    .vgpr_spill_count: 0
    .wavefront_size: 64
  - .agpr_count:     0
    .args:
      - .address_space:  global
        .offset:         0
        .size:           8
        .value_kind:     global_buffer
      - .address_space:  global
        .offset:         8
        .size:           8
        .value_kind:     global_buffer
      - .address_space:  global
        .offset:         16
        .size:           8
        .value_kind:     global_buffer
    .group_segment_fixed_size: 510
    .kernarg_segment_align: 8
    .kernarg_segment_size: 24
    .language:       OpenCL C
    .language_version:
      - 2
      - 0
    .max_flat_workgroup_size: 255
    .name:           _Z34subtract_right_partial_tile_kernelIhbiN6hipcub3SumELj255ELj1EEvPKT_PiPT1_
    .private_segment_fixed_size: 0
    .sgpr_count:     16
    .sgpr_spill_count: 0
    .symbol:         _Z34subtract_right_partial_tile_kernelIhbiN6hipcub3SumELj255ELj1EEvPKT_PiPT1_.kd
    .uniform_work_group_size: 1
    .uses_dynamic_stack: false
    .vgpr_count:     3
    .vgpr_spill_count: 0
    .wavefront_size: 64
  - .agpr_count:     0
    .args:
      - .address_space:  global
        .offset:         0
        .size:           8
        .value_kind:     global_buffer
      - .address_space:  global
        .offset:         8
        .size:           8
        .value_kind:     global_buffer
      - .address_space:  global
        .offset:         16
        .size:           8
        .value_kind:     global_buffer
    .group_segment_fixed_size: 1296
    .kernarg_segment_align: 8
    .kernarg_segment_size: 24
    .language:       OpenCL C
    .language_version:
      - 2
      - 0
    .max_flat_workgroup_size: 162
    .name:           _Z34subtract_right_partial_tile_kernelIjxx10custom_op2Lj162ELj1EEvPKT_PiPT1_
    .private_segment_fixed_size: 0
    .sgpr_count:     16
    .sgpr_spill_count: 0
    .symbol:         _Z34subtract_right_partial_tile_kernelIjxx10custom_op2Lj162ELj1EEvPKT_PiPT1_.kd
    .uniform_work_group_size: 1
    .uses_dynamic_stack: false
    .vgpr_count:     4
    .vgpr_spill_count: 0
    .wavefront_size: 64
  - .agpr_count:     0
    .args:
      - .address_space:  global
        .offset:         0
        .size:           8
        .value_kind:     global_buffer
      - .address_space:  global
        .offset:         8
        .size:           8
        .value_kind:     global_buffer
      - .address_space:  global
        .offset:         16
        .size:           8
        .value_kind:     global_buffer
    .group_segment_fixed_size: 8160
    .kernarg_segment_align: 8
    .kernarg_segment_size: 24
    .language:       OpenCL C
    .language_version:
      - 2
      - 0
    .max_flat_workgroup_size: 510
    .name:           _Z34subtract_right_partial_tile_kernelIxcc10custom_op1Lj510ELj1EEvPKT_PiPT1_
    .private_segment_fixed_size: 0
    .sgpr_count:     16
    .sgpr_spill_count: 0
    .symbol:         _Z34subtract_right_partial_tile_kernelIxcc10custom_op1Lj510ELj1EEvPKT_PiPT1_.kd
    .uniform_work_group_size: 1
    .uses_dynamic_stack: false
    .vgpr_count:     6
    .vgpr_spill_count: 0
    .wavefront_size: 64
  - .agpr_count:     0
    .args:
      - .address_space:  global
        .offset:         0
        .size:           8
        .value_kind:     global_buffer
      - .address_space:  global
        .offset:         8
        .size:           8
        .value_kind:     global_buffer
      - .address_space:  global
        .offset:         16
        .size:           8
        .value_kind:     global_buffer
    .group_segment_fixed_size: 296
    .kernarg_segment_align: 8
    .kernarg_segment_size: 24
    .language:       OpenCL C
    .language_version:
      - 2
      - 0
    .max_flat_workgroup_size: 37
    .name:           _Z34subtract_right_partial_tile_kernelIfiiN6hipcub3SumELj37ELj1EEvPKT_PiPT1_
    .private_segment_fixed_size: 0
    .sgpr_count:     16
    .sgpr_spill_count: 0
    .symbol:         _Z34subtract_right_partial_tile_kernelIfiiN6hipcub3SumELj37ELj1EEvPKT_PiPT1_.kd
    .uniform_work_group_size: 1
    .uses_dynamic_stack: false
    .vgpr_count:     3
    .vgpr_spill_count: 0
    .wavefront_size: 64
  - .agpr_count:     0
    .args:
      - .address_space:  global
        .offset:         0
        .size:           8
        .value_kind:     global_buffer
      - .address_space:  global
        .offset:         8
        .size:           8
        .value_kind:     global_buffer
      - .address_space:  global
        .offset:         16
        .size:           8
        .value_kind:     global_buffer
    .group_segment_fixed_size: 2048
    .kernarg_segment_align: 8
    .kernarg_segment_size: 24
    .language:       OpenCL C
    .language_version:
      - 2
      - 0
    .max_flat_workgroup_size: 256
    .name:           _Z34subtract_right_partial_tile_kernelIibi10custom_op1Lj256ELj1EEvPKT_PiPT1_
    .private_segment_fixed_size: 0
    .sgpr_count:     16
    .sgpr_spill_count: 0
    .symbol:         _Z34subtract_right_partial_tile_kernelIibi10custom_op1Lj256ELj1EEvPKT_PiPT1_.kd
    .uniform_work_group_size: 1
    .uses_dynamic_stack: false
    .vgpr_count:     3
    .vgpr_spill_count: 0
    .wavefront_size: 64
  - .agpr_count:     0
    .args:
      - .address_space:  global
        .offset:         0
        .size:           8
        .value_kind:     global_buffer
      - .address_space:  global
        .offset:         8
        .size:           8
        .value_kind:     global_buffer
      - .address_space:  global
        .offset:         16
        .size:           8
        .value_kind:     global_buffer
    .group_segment_fixed_size: 1024
    .kernarg_segment_align: 8
    .kernarg_segment_size: 24
    .language:       OpenCL C
    .language_version:
      - 2
      - 0
    .max_flat_workgroup_size: 256
    .name:           _Z34subtract_right_partial_tile_kernelI12hip_bfloat16ii10custom_op2Lj256ELj1EEvPKT_PiPT1_
    .private_segment_fixed_size: 0
    .sgpr_count:     16
    .sgpr_spill_count: 0
    .symbol:         _Z34subtract_right_partial_tile_kernelI12hip_bfloat16ii10custom_op2Lj256ELj1EEvPKT_PiPT1_.kd
    .uniform_work_group_size: 1
    .uses_dynamic_stack: false
    .vgpr_count:     5
    .vgpr_spill_count: 0
    .wavefront_size: 64
  - .agpr_count:     0
    .args:
      - .address_space:  global
        .offset:         0
        .size:           8
        .value_kind:     global_buffer
      - .address_space:  global
        .offset:         8
        .size:           8
        .value_kind:     global_buffer
      - .address_space:  global
        .offset:         16
        .size:           8
        .value_kind:     global_buffer
    .group_segment_fixed_size: 1024
    .kernarg_segment_align: 8
    .kernarg_segment_size: 24
    .language:       OpenCL C
    .language_version:
      - 2
      - 0
    .max_flat_workgroup_size: 256
    .name:           _Z34subtract_right_partial_tile_kernelI6__halfii10custom_op1Lj256ELj1EEvPKT_PiPT1_
    .private_segment_fixed_size: 0
    .sgpr_count:     16
    .sgpr_spill_count: 0
    .symbol:         _Z34subtract_right_partial_tile_kernelI6__halfii10custom_op1Lj256ELj1EEvPKT_PiPT1_.kd
    .uniform_work_group_size: 1
    .uses_dynamic_stack: false
    .vgpr_count:     4
    .vgpr_spill_count: 0
    .wavefront_size: 64
  - .agpr_count:     0
    .args:
      - .address_space:  global
        .offset:         0
        .size:           8
        .value_kind:     global_buffer
      - .address_space:  global
        .offset:         8
        .size:           8
        .value_kind:     global_buffer
      - .address_space:  global
        .offset:         16
        .size:           8
        .value_kind:     global_buffer
    .group_segment_fixed_size: 2048
    .kernarg_segment_align: 8
    .kernarg_segment_size: 24
    .language:       OpenCL C
    .language_version:
      - 2
      - 0
    .max_flat_workgroup_size: 256
    .name:           _Z34subtract_right_partial_tile_kernelIfii10custom_op2Lj256ELj1EEvPKT_PiPT1_
    .private_segment_fixed_size: 0
    .sgpr_count:     16
    .sgpr_spill_count: 0
    .symbol:         _Z34subtract_right_partial_tile_kernelIfii10custom_op2Lj256ELj1EEvPKT_PiPT1_.kd
    .uniform_work_group_size: 1
    .uses_dynamic_stack: false
    .vgpr_count:     3
    .vgpr_spill_count: 0
    .wavefront_size: 64
  - .agpr_count:     0
    .args:
      - .address_space:  global
        .offset:         0
        .size:           8
        .value_kind:     global_buffer
      - .address_space:  global
        .offset:         8
        .size:           8
        .value_kind:     global_buffer
      - .address_space:  global
        .offset:         16
        .size:           8
        .value_kind:     global_buffer
    .group_segment_fixed_size: 1024
    .kernarg_segment_align: 8
    .kernarg_segment_size: 24
    .language:       OpenCL C
    .language_version:
      - 2
      - 0
    .max_flat_workgroup_size: 128
    .name:           _Z34subtract_right_partial_tile_kernelIibi10custom_op1Lj128ELj1EEvPKT_PiPT1_
    .private_segment_fixed_size: 0
    .sgpr_count:     16
    .sgpr_spill_count: 0
    .symbol:         _Z34subtract_right_partial_tile_kernelIibi10custom_op1Lj128ELj1EEvPKT_PiPT1_.kd
    .uniform_work_group_size: 1
    .uses_dynamic_stack: false
    .vgpr_count:     3
    .vgpr_spill_count: 0
    .wavefront_size: 64
  - .agpr_count:     0
    .args:
      - .address_space:  global
        .offset:         0
        .size:           8
        .value_kind:     global_buffer
      - .address_space:  global
        .offset:         8
        .size:           8
        .value_kind:     global_buffer
      - .address_space:  global
        .offset:         16
        .size:           8
        .value_kind:     global_buffer
    .group_segment_fixed_size: 512
    .kernarg_segment_align: 8
    .kernarg_segment_size: 24
    .language:       OpenCL C
    .language_version:
      - 2
      - 0
    .max_flat_workgroup_size: 64
    .name:           _Z34subtract_right_partial_tile_kernelIjiiN6hipcub3SumELj64ELj1EEvPKT_PiPT1_
    .private_segment_fixed_size: 0
    .sgpr_count:     16
    .sgpr_spill_count: 0
    .symbol:         _Z34subtract_right_partial_tile_kernelIjiiN6hipcub3SumELj64ELj1EEvPKT_PiPT1_.kd
    .uniform_work_group_size: 1
    .uses_dynamic_stack: false
    .vgpr_count:     3
    .vgpr_spill_count: 0
    .wavefront_size: 64
amdhsa.target:   amdgcn-amd-amdhsa--gfx90a
amdhsa.version:
  - 1
  - 2
...

	.end_amdgpu_metadata
